;; amdgpu-corpus repo=ROCm/rocFFT kind=compiled arch=gfx1201 opt=O3
	.text
	.amdgcn_target "amdgcn-amd-amdhsa--gfx1201"
	.amdhsa_code_object_version 6
	.protected	bluestein_single_fwd_len2592_dim1_sp_op_CI_CI ; -- Begin function bluestein_single_fwd_len2592_dim1_sp_op_CI_CI
	.globl	bluestein_single_fwd_len2592_dim1_sp_op_CI_CI
	.p2align	8
	.type	bluestein_single_fwd_len2592_dim1_sp_op_CI_CI,@function
bluestein_single_fwd_len2592_dim1_sp_op_CI_CI: ; @bluestein_single_fwd_len2592_dim1_sp_op_CI_CI
; %bb.0:
	s_load_b128 s[16:19], s[0:1], 0x28
	v_mul_u32_u24_e32 v1, 0x130, v0
	s_mov_b32 s2, exec_lo
	v_mov_b32_e32 v65, 0
	s_delay_alu instid0(VALU_DEP_2) | instskip(NEXT) | instid1(VALU_DEP_1)
	v_lshrrev_b32_e32 v1, 16, v1
	v_add_nc_u32_e32 v64, ttmp9, v1
	s_wait_kmcnt 0x0
	s_delay_alu instid0(VALU_DEP_1)
	v_cmpx_gt_u64_e64 s[16:17], v[64:65]
	s_cbranch_execz .LBB0_2
; %bb.1:
	s_clause 0x1
	s_load_b128 s[4:7], s[0:1], 0x18
	s_load_b128 s[8:11], s[0:1], 0x0
	v_mul_lo_u16 v1, 0xd8, v1
	s_load_b64 s[0:1], s[0:1], 0x38
	s_delay_alu instid0(VALU_DEP_1) | instskip(NEXT) | instid1(VALU_DEP_1)
	v_sub_nc_u16 v16, v0, v1
	v_and_b32_e32 v87, 0xffff, v16
	s_delay_alu instid0(VALU_DEP_1)
	v_lshlrev_b32_e32 v88, 3, v87
	s_wait_kmcnt 0x0
	s_load_b128 s[12:15], s[4:5], 0x0
	s_clause 0x1
	global_load_b64 v[40:41], v88, s[8:9]
	global_load_b64 v[42:43], v88, s[8:9] offset:3456
	s_wait_kmcnt 0x0
	v_mad_co_u64_u32 v[0:1], null, s14, v64, 0
	v_mad_co_u64_u32 v[2:3], null, s12, v87, 0
	s_mul_u64 s[2:3], s[12:13], 0xd80
	s_mul_i32 s4, s13, 0xffffc340
	s_delay_alu instid0(SALU_CYCLE_1) | instskip(NEXT) | instid1(VALU_DEP_1)
	s_sub_co_i32 s4, s4, s12
	v_mad_co_u64_u32 v[4:5], null, s15, v64, v[1:2]
	s_delay_alu instid0(VALU_DEP_1) | instskip(SKIP_1) | instid1(VALU_DEP_1)
	v_mad_co_u64_u32 v[5:6], null, s13, v87, v[3:4]
	v_mov_b32_e32 v1, v4
	v_lshlrev_b64_e32 v[0:1], 3, v[0:1]
	s_delay_alu instid0(VALU_DEP_3) | instskip(NEXT) | instid1(VALU_DEP_2)
	v_mov_b32_e32 v3, v5
	v_add_co_u32 v0, vcc_lo, s18, v0
	s_delay_alu instid0(VALU_DEP_2) | instskip(NEXT) | instid1(VALU_DEP_4)
	v_lshlrev_b64_e32 v[2:3], 3, v[2:3]
	v_add_co_ci_u32_e32 v1, vcc_lo, s19, v1, vcc_lo
	s_delay_alu instid0(VALU_DEP_2) | instskip(SKIP_1) | instid1(VALU_DEP_2)
	v_add_co_u32 v0, vcc_lo, v0, v2
	s_wait_alu 0xfffd
	v_add_co_ci_u32_e32 v1, vcc_lo, v1, v3, vcc_lo
	s_delay_alu instid0(VALU_DEP_2) | instskip(SKIP_1) | instid1(VALU_DEP_2)
	v_add_co_u32 v2, vcc_lo, v0, s2
	s_wait_alu 0xfffd
	v_add_co_ci_u32_e32 v3, vcc_lo, s3, v1, vcc_lo
	global_load_b64 v[0:1], v[0:1], off
	v_add_co_u32 v4, vcc_lo, v2, s2
	s_wait_alu 0xfffd
	v_add_co_ci_u32_e32 v5, vcc_lo, s3, v3, vcc_lo
	global_load_b64 v[2:3], v[2:3], off
	s_clause 0x1
	global_load_b64 v[46:47], v88, s[8:9] offset:6912
	global_load_b64 v[44:45], v88, s[8:9] offset:10368
	v_add_co_u32 v6, vcc_lo, v4, s2
	s_wait_alu 0xfffd
	v_add_co_ci_u32_e32 v7, vcc_lo, s3, v5, vcc_lo
	global_load_b64 v[48:49], v88, s[8:9] offset:13824
	global_load_b64 v[4:5], v[4:5], off
	global_load_b64 v[50:51], v88, s[8:9] offset:17280
	v_add_co_u32 v8, vcc_lo, v6, s2
	s_wait_alu 0xfffd
	v_add_co_ci_u32_e32 v9, vcc_lo, s3, v7, vcc_lo
	global_load_b64 v[6:7], v[6:7], off
	v_add_co_u32 v10, vcc_lo, v8, s2
	s_wait_alu 0xfffd
	v_add_co_ci_u32_e32 v11, vcc_lo, s3, v9, vcc_lo
	global_load_b64 v[8:9], v[8:9], off
	v_add_nc_u32_e32 v92, 0x1a00, v88
	v_and_b32_e32 v31, 0xff, v16
	v_mad_co_u64_u32 v[12:13], null, 0xffffc340, s12, v[10:11]
	v_add_nc_u32_e32 v90, 0x3600, v88
	v_add_nc_u32_e32 v93, 0xd00, v88
	;; [unrolled: 1-line block ×3, first 2 shown]
	s_delay_alu instid0(VALU_DEP_4)
	v_add_nc_u32_e32 v13, s4, v13
	s_wait_loadcnt 0x8
	v_mul_f32_e32 v28, v0, v41
	s_wait_loadcnt 0x7
	v_mul_f32_e32 v30, v2, v43
	s_clause 0x2
	global_load_b64 v[54:55], v88, s[8:9] offset:5184
	global_load_b64 v[56:57], v88, s[8:9] offset:1728
	;; [unrolled: 1-line block ×3, first 2 shown]
	global_load_b64 v[10:11], v[10:11], off
	global_load_b64 v[14:15], v[12:13], off
	v_add_co_u32 v12, vcc_lo, v12, s2
	s_wait_alu 0xfffd
	v_add_co_ci_u32_e32 v13, vcc_lo, s3, v13, vcc_lo
	global_load_b64 v[58:59], v88, s[8:9] offset:8640
	v_add_co_u32 v17, vcc_lo, v12, s2
	s_wait_alu 0xfffd
	v_add_co_ci_u32_e32 v18, vcc_lo, s3, v13, vcc_lo
	global_load_b64 v[12:13], v[12:13], off
	v_add_co_u32 v19, vcc_lo, v17, s2
	s_wait_alu 0xfffd
	v_add_co_ci_u32_e32 v20, vcc_lo, s3, v18, vcc_lo
	global_load_b64 v[21:22], v[17:18], off
	;; [unrolled: 4-line block ×3, first 2 shown]
	v_add_co_u32 v23, vcc_lo, v17, s2
	s_wait_alu 0xfffd
	v_add_co_ci_u32_e32 v24, vcc_lo, s3, v18, vcc_lo
	s_clause 0x1
	global_load_b64 v[60:61], v88, s[8:9] offset:19008
	global_load_b64 v[62:63], v88, s[8:9] offset:15552
	global_load_b64 v[25:26], v[17:18], off
	global_load_b64 v[23:24], v[23:24], off
	v_add_co_u32 v17, null, 0xd8, v87
	v_mul_f32_e32 v29, v3, v43
	v_fma_f32 v28, v1, v40, -v28
	v_fma_f32 v30, v3, v42, -v30
	s_delay_alu instid0(VALU_DEP_4)
	v_and_b32_e32 v33, 0xffff, v17
	s_wait_loadcnt 0xe
	v_mul_f32_e32 v3, v6, v45
	v_mul_lo_u16 v18, v16, 6
	v_add_nc_u32_e32 v89, 0x4300, v88
	s_load_b128 s[4:7], s[6:7], 0x0
	v_mul_u32_u24_e32 v27, 0xaaab, v33
	v_fma_f32 v3, v7, v44, -v3
	v_and_b32_e32 v32, 0xffff, v18
	s_delay_alu instid0(VALU_DEP_3) | instskip(SKIP_2) | instid1(VALU_DEP_4)
	v_lshrrev_b32_e32 v35, 18, v27
	v_mul_f32_e32 v27, v1, v41
	v_mul_f32_e32 v1, v4, v47
	v_lshlrev_b32_e32 v97, 3, v32
	s_delay_alu instid0(VALU_DEP_4) | instskip(NEXT) | instid1(VALU_DEP_4)
	v_mul_lo_u16 v36, v35, 6
	v_dual_fmac_f32 v27, v0, v40 :: v_dual_mul_f32 v0, v5, v47
	v_mul_lo_u16 v18, 0xab, v31
	s_delay_alu instid0(VALU_DEP_2) | instskip(SKIP_4) | instid1(VALU_DEP_3)
	v_fmac_f32_e32 v0, v4, v46
	s_wait_loadcnt 0xd
	v_dual_mul_f32 v4, v9, v49 :: v_dual_fmac_f32 v29, v2, v42
	v_mul_f32_e32 v2, v7, v45
	v_lshrrev_b16 v34, 10, v18
	v_fmac_f32_e32 v4, v8, v48
	s_delay_alu instid0(VALU_DEP_3) | instskip(SKIP_1) | instid1(VALU_DEP_4)
	v_fmac_f32_e32 v2, v6, v44
	v_fma_f32 v1, v5, v46, -v1
	v_mul_lo_u16 v18, v34, 6
	s_wait_loadcnt 0x9
	v_dual_mul_f32 v6, v11, v51 :: v_dual_mul_f32 v5, v8, v49
	s_wait_loadcnt 0x8
	v_dual_mul_f32 v7, v10, v51 :: v_dual_mul_f32 v8, v15, v57
	s_delay_alu instid0(VALU_DEP_2) | instskip(NEXT) | instid1(VALU_DEP_3)
	v_fmac_f32_e32 v6, v10, v50
	v_fma_f32 v5, v9, v48, -v5
	s_delay_alu instid0(VALU_DEP_3)
	v_fma_f32 v7, v11, v50, -v7
	ds_store_b64 v88, v[29:30] offset:3456
	ds_store_b64 v88, v[0:1] offset:6912
	;; [unrolled: 1-line block ×5, first 2 shown]
	s_wait_loadcnt 0x6
	v_dual_fmac_f32 v8, v14, v56 :: v_dual_mul_f32 v1, v12, v55
	v_mul_f32_e32 v0, v13, v55
	s_wait_loadcnt 0x5
	v_mul_f32_e32 v2, v22, v59
	s_delay_alu instid0(VALU_DEP_2)
	v_dual_mul_f32 v3, v21, v59 :: v_dual_fmac_f32 v0, v12, v54
	v_fma_f32 v1, v13, v54, -v1
	s_wait_loadcnt 0x4
	v_mul_f32_e32 v4, v20, v53
	v_mul_f32_e32 v5, v19, v53
	v_dual_mul_f32 v37, v14, v57 :: v_dual_fmac_f32 v2, v21, v58
	s_wait_loadcnt 0x1
	v_mul_f32_e32 v6, v26, v63
	v_dual_fmac_f32 v4, v19, v52 :: v_dual_mul_f32 v7, v25, v63
	s_delay_alu instid0(VALU_DEP_3) | instskip(SKIP_2) | instid1(VALU_DEP_4)
	v_fma_f32 v9, v15, v56, -v37
	v_fma_f32 v3, v22, v58, -v3
	;; [unrolled: 1-line block ×4, first 2 shown]
	ds_store_2addr_b64 v88, v[27:28], v[8:9] offset1:216
	s_wait_loadcnt 0x0
	v_mul_f32_e32 v9, v23, v61
	v_sub_nc_u16 v27, v16, v18
	v_mul_f32_e32 v8, v24, v61
	v_fmac_f32_e32 v6, v25, v62
	v_sub_nc_u16 v28, v17, v36
	v_fma_f32 v9, v24, v60, -v9
	s_delay_alu instid0(VALU_DEP_4)
	v_dual_fmac_f32 v8, v23, v60 :: v_dual_and_b32 v29, 0xff, v27
	ds_store_b64 v88, v[0:1] offset:5184
	ds_store_b64 v88, v[2:3] offset:8640
	;; [unrolled: 1-line block ×5, first 2 shown]
	global_wb scope:SCOPE_SE
	s_wait_dscnt 0x0
	s_wait_kmcnt 0x0
	s_barrier_signal -1
	s_barrier_wait -1
	global_inv scope:SCOPE_SE
	ds_load_2addr_b64 v[0:3], v88 offset1:216
	ds_load_2addr_b64 v[4:7], v92 offset0:32 offset1:248
	ds_load_2addr_b64 v[8:11], v90 offset1:216
	ds_load_2addr_b64 v[12:15], v93 offset0:16 offset1:232
	ds_load_2addr_b64 v[18:21], v91 offset0:16 offset1:232
	;; [unrolled: 1-line block ×3, first 2 shown]
	v_mul_u32_u24_e32 v26, 6, v17
	v_mul_lo_u16 v30, v28, 40
	global_wb scope:SCOPE_SE
	s_wait_dscnt 0x0
	s_barrier_signal -1
	s_barrier_wait -1
	v_lshlrev_b32_e32 v96, 3, v26
	v_and_b32_e32 v30, 0xffff, v30
	v_mad_co_u64_u32 v[26:27], null, v29, 40, s[10:11]
	global_inv scope:SCOPE_SE
	v_add_f32_e32 v32, v0, v4
	v_dual_add_f32 v36, v4, v8 :: v_dual_sub_f32 v37, v5, v9
	v_dual_add_f32 v38, v1, v5 :: v_dual_add_f32 v39, v12, v18
	v_dual_add_f32 v5, v5, v9 :: v_dual_sub_f32 v4, v4, v8
	v_add_f32_e32 v69, v6, v10
	v_dual_add_f32 v65, v18, v22 :: v_dual_sub_f32 v66, v19, v23
	v_add_f32_e32 v73, v20, v24
	v_add_f32_e32 v67, v13, v19
	v_dual_add_f32 v19, v19, v23 :: v_dual_sub_f32 v18, v18, v22
	v_dual_add_f32 v71, v3, v7 :: v_dual_add_f32 v68, v2, v6
	v_sub_f32_e32 v70, v7, v11
	v_dual_add_f32 v7, v7, v11 :: v_dual_sub_f32 v6, v6, v10
	v_add_f32_e32 v75, v15, v21
	v_sub_f32_e32 v74, v21, v25
	v_add_f32_e32 v21, v21, v25
	s_delay_alu instid0(VALU_DEP_4) | instskip(SKIP_1) | instid1(VALU_DEP_3)
	v_dual_fmac_f32 v3, -0.5, v7 :: v_dual_add_f32 v72, v14, v20
	v_dual_sub_f32 v20, v20, v24 :: v_dual_add_f32 v9, v38, v9
	v_dual_add_f32 v8, v32, v8 :: v_dual_fmac_f32 v15, -0.5, v21
	v_fma_f32 v0, -0.5, v36, v0
	v_fma_f32 v1, -0.5, v5, v1
	;; [unrolled: 1-line block ×3, first 2 shown]
	v_add_f32_e32 v12, v67, v23
	v_fma_f32 v19, -0.5, v19, v13
	v_add_f32_e32 v23, v68, v10
	v_dual_add_f32 v22, v39, v22 :: v_dual_add_f32 v7, v72, v24
	v_fma_f32 v2, -0.5, v69, v2
	v_add_f32_e32 v36, v71, v11
	v_fma_f32 v14, -0.5, v73, v14
	v_dual_add_f32 v24, v75, v25 :: v_dual_fmamk_f32 v25, v37, 0x3f5db3d7, v0
	v_dual_fmac_f32 v0, 0xbf5db3d7, v37 :: v_dual_fmamk_f32 v39, v18, 0xbf5db3d7, v19
	v_fmamk_f32 v37, v4, 0xbf5db3d7, v1
	v_dual_fmac_f32 v1, 0x3f5db3d7, v4 :: v_dual_fmamk_f32 v38, v66, 0x3f5db3d7, v32
	v_fmac_f32_e32 v19, 0x3f5db3d7, v18
	v_dual_add_f32 v4, v8, v22 :: v_dual_sub_f32 v11, v9, v12
	v_dual_sub_f32 v10, v8, v22 :: v_dual_fmamk_f32 v65, v70, 0x3f5db3d7, v2
	s_delay_alu instid0(VALU_DEP_3)
	v_dual_fmamk_f32 v8, v20, 0xbf5db3d7, v15 :: v_dual_mul_f32 v67, -0.5, v19
	v_fmac_f32_e32 v15, 0x3f5db3d7, v20
	v_dual_fmac_f32 v32, 0xbf5db3d7, v66 :: v_dual_add_f32 v5, v9, v12
	v_dual_fmac_f32 v2, 0xbf5db3d7, v70 :: v_dual_add_f32 v13, v36, v24
	v_dual_fmamk_f32 v66, v6, 0xbf5db3d7, v3 :: v_dual_sub_f32 v21, v36, v24
	v_dual_fmac_f32 v3, 0x3f5db3d7, v6 :: v_dual_fmamk_f32 v6, v74, 0x3f5db3d7, v14
	v_fmac_f32_e32 v14, 0xbf5db3d7, v74
	v_add_f32_e32 v12, v23, v7
	v_dual_mul_f32 v36, 0xbf5db3d7, v38 :: v_dual_mul_f32 v71, -0.5, v15
	v_dual_sub_f32 v20, v23, v7 :: v_dual_mul_f32 v23, -0.5, v32
	s_delay_alu instid0(VALU_DEP_2) | instskip(NEXT) | instid1(VALU_DEP_3)
	v_dual_mul_f32 v69, -0.5, v14 :: v_dual_fmac_f32 v36, 0.5, v39
	v_fmac_f32_e32 v71, 0xbf5db3d7, v14
	v_mul_f32_e32 v18, 0x3f5db3d7, v39
	s_delay_alu instid0(VALU_DEP_4) | instskip(SKIP_1) | instid1(VALU_DEP_3)
	v_dual_mul_f32 v68, 0x3f5db3d7, v8 :: v_dual_fmac_f32 v23, 0x3f5db3d7, v19
	v_dual_mul_f32 v70, 0xbf5db3d7, v6 :: v_dual_fmac_f32 v67, 0xbf5db3d7, v32
	v_dual_add_f32 v7, v37, v36 :: v_dual_fmac_f32 v18, 0.5, v38
	s_delay_alu instid0(VALU_DEP_3) | instskip(NEXT) | instid1(VALU_DEP_3)
	v_dual_fmac_f32 v69, 0x3f5db3d7, v15 :: v_dual_fmac_f32 v68, 0.5, v6
	v_dual_add_f32 v9, v1, v67 :: v_dual_fmac_f32 v70, 0.5, v8
	s_delay_alu instid0(VALU_DEP_3)
	v_dual_add_f32 v6, v25, v18 :: v_dual_add_f32 v19, v3, v71
	v_add_f32_e32 v8, v0, v23
	v_dual_sub_f32 v22, v25, v18 :: v_dual_sub_f32 v3, v3, v71
	v_sub_f32_e32 v25, v1, v67
	v_dual_sub_f32 v24, v0, v23 :: v_dual_add_f32 v15, v66, v70
	v_sub_f32_e32 v23, v37, v36
	v_dual_add_f32 v14, v65, v68 :: v_dual_sub_f32 v1, v66, v70
	v_add_f32_e32 v18, v2, v69
	v_sub_f32_e32 v0, v65, v68
	v_sub_f32_e32 v2, v2, v69
	ds_store_b128 v97, v[4:7]
	ds_store_b128 v97, v[8:11] offset:16
	ds_store_b128 v97, v[22:25] offset:32
	ds_store_b128 v96, v[12:15]
	ds_store_b128 v96, v[18:21] offset:16
	ds_store_b128 v96, v[0:3] offset:32
	global_wb scope:SCOPE_SE
	s_wait_dscnt 0x0
	s_barrier_signal -1
	s_barrier_wait -1
	global_inv scope:SCOPE_SE
	s_clause 0x1
	global_load_b128 v[8:11], v[26:27], off
	global_load_b128 v[0:3], v[26:27], off offset:16
	v_add_co_u32 v18, s2, s10, v30
	s_wait_alu 0xf1ff
	v_add_co_ci_u32_e64 v19, null, s11, 0, s2
	s_clause 0x3
	global_load_b64 v[65:66], v[26:27], off offset:32
	global_load_b128 v[12:15], v[18:19], off
	global_load_b128 v[4:7], v[18:19], off offset:16
	global_load_b64 v[67:68], v[18:19], off offset:32
	v_mul_lo_u16 v18, v31, 57
	v_mul_u32_u24_e32 v19, 0xe38f, v33
	v_mad_u16 v24, v35, 36, v28
	v_and_b32_e32 v20, 0xffff, v34
	s_delay_alu instid0(VALU_DEP_4) | instskip(NEXT) | instid1(VALU_DEP_4)
	v_lshrrev_b16 v39, 11, v18
	v_lshrrev_b32_e32 v33, 21, v19
	s_delay_alu instid0(VALU_DEP_4) | instskip(SKIP_4) | instid1(VALU_DEP_3)
	v_and_b32_e32 v69, 0xffff, v24
	ds_load_2addr_b64 v[24:27], v91 offset0:16 offset1:232
	v_mul_lo_u16 v18, v39, 36
	v_mul_lo_u16 v19, v33, 36
	v_and_b32_e32 v39, 0xffff, v39
	v_sub_nc_u16 v16, v16, v18
	s_delay_alu instid0(VALU_DEP_3) | instskip(NEXT) | instid1(VALU_DEP_2)
	v_sub_nc_u16 v34, v17, v19
	v_and_b32_e32 v32, 0xff, v16
	ds_load_2addr_b64 v[16:19], v93 offset0:16 offset1:232
	v_mul_lo_u16 v28, v34, 40
	v_mad_u16 v33, 0xd8, v33, v34
	v_mul_u32_u24_e32 v34, 0xd8, v39
	s_delay_alu instid0(VALU_DEP_3) | instskip(NEXT) | instid1(VALU_DEP_3)
	v_and_b32_e32 v70, 0xffff, v28
	v_and_b32_e32 v33, 0xffff, v33
	s_wait_loadcnt_dscnt 0x500
	v_mul_f32_e32 v77, v17, v9
	v_mul_u32_u24_e32 v20, 36, v20
	s_wait_loadcnt 0x4
	v_mul_f32_e32 v81, v25, v1
	v_mad_co_u64_u32 v[73:74], null, v32, 40, s[10:11]
	v_fma_f32 v77, v16, v8, -v77
	v_add_lshl_u32 v95, v20, v29, 3
	ds_load_2addr_b64 v[20:23], v92 offset0:32 offset1:248
	ds_load_2addr_b64 v[28:31], v90 offset1:216
	ds_load_2addr_b64 v[35:38], v89 offset0:16 offset1:232
	v_lshlrev_b32_e32 v94, 3, v69
	v_mul_f32_e32 v78, v16, v9
	s_wait_loadcnt 0x2
	v_mul_f32_e32 v99, v18, v13
	s_wait_loadcnt 0x1
	v_mul_f32_e32 v103, v26, v5
	s_delay_alu instid0(VALU_DEP_2) | instskip(NEXT) | instid1(VALU_DEP_2)
	v_dual_mul_f32 v82, v24, v1 :: v_dual_fmac_f32 v99, v19, v12
	v_fmac_f32_e32 v103, v27, v4
	s_wait_dscnt 0x1
	v_mul_f32_e32 v83, v29, v3
	s_wait_loadcnt_dscnt 0x0
	v_mul_f32_e32 v107, v37, v68
	v_add_co_u32 v75, s2, s10, v70
	ds_load_2addr_b64 v[69:72], v88 offset1:216
	v_mul_f32_e32 v79, v21, v11
	v_mul_f32_e32 v80, v20, v11
	;; [unrolled: 1-line block ×4, first 2 shown]
	v_dual_mul_f32 v105, v30, v7 :: v_dual_fmac_f32 v78, v17, v8
	v_fma_f32 v16, v20, v10, -v79
	v_mul_f32_e32 v98, v19, v13
	v_fmac_f32_e32 v80, v21, v10
	v_fma_f32 v17, v24, v0, -v81
	v_fmac_f32_e32 v84, v29, v2
	v_mul_f32_e32 v100, v23, v15
	v_fma_f32 v21, v35, v65, -v85
	v_mul_f32_e32 v104, v31, v7
	v_dual_mul_f32 v86, v35, v66 :: v_dual_fmac_f32 v107, v38, v67
	v_dual_mul_f32 v101, v22, v15 :: v_dual_mul_f32 v102, v27, v5
	v_add_f32_e32 v29, v80, v84
	v_mul_f32_e32 v106, v38, v68
	v_fmac_f32_e32 v82, v25, v0
	v_fma_f32 v20, v28, v2, -v83
	v_fmac_f32_e32 v105, v31, v6
	s_wait_dscnt 0x0
	v_add_f32_e32 v25, v69, v16
	v_fma_f32 v24, v18, v12, -v98
	v_sub_f32_e32 v27, v80, v84
	v_fma_f32 v18, v22, v14, -v100
	v_add_f32_e32 v31, v17, v21
	v_fma_f32 v22, v30, v6, -v104
	v_dual_fmac_f32 v86, v36, v65 :: v_dual_fmac_f32 v101, v23, v14
	v_fma_f32 v19, v26, v4, -v102
	v_fma_f32 v23, v37, v67, -v106
	s_delay_alu instid0(VALU_DEP_4)
	v_sub_f32_e32 v83, v18, v22
	v_dual_add_f32 v79, v18, v22 :: v_dual_add_f32 v26, v16, v20
	v_sub_f32_e32 v35, v82, v86
	v_add_f32_e32 v28, v70, v80
	v_dual_sub_f32 v16, v16, v20 :: v_dual_add_f32 v37, v82, v86
	v_dual_add_f32 v30, v77, v17 :: v_dual_add_f32 v85, v19, v23
	v_dual_add_f32 v36, v78, v82 :: v_dual_add_f32 v81, v72, v101
	v_add_f32_e32 v38, v71, v18
	v_sub_f32_e32 v80, v101, v105
	v_dual_add_f32 v82, v101, v105 :: v_dual_fmac_f32 v77, -0.5, v31
	v_add_f32_e32 v101, v103, v107
	v_fma_f32 v69, -0.5, v26, v69
	v_dual_sub_f32 v17, v17, v21 :: v_dual_add_f32 v18, v24, v19
	v_dual_add_f32 v21, v30, v21 :: v_dual_sub_f32 v98, v103, v107
	s_delay_alu instid0(VALU_DEP_4)
	v_dual_add_f32 v100, v99, v103 :: v_dual_fmac_f32 v99, -0.5, v101
	v_fma_f32 v70, -0.5, v29, v70
	v_dual_sub_f32 v102, v19, v23 :: v_dual_add_f32 v19, v25, v20
	v_dual_add_f32 v20, v28, v84 :: v_dual_add_f32 v23, v18, v23
	v_dual_add_f32 v25, v36, v86 :: v_dual_fmac_f32 v78, -0.5, v37
	v_dual_fmamk_f32 v29, v27, 0x3f5db3d7, v69 :: v_dual_add_f32 v22, v38, v22
	v_fmac_f32_e32 v69, 0xbf5db3d7, v27
	v_fma_f32 v71, -0.5, v79, v71
	v_dual_add_f32 v26, v81, v105 :: v_dual_fmamk_f32 v27, v35, 0x3f5db3d7, v77
	v_fmac_f32_e32 v24, -0.5, v85
	v_dual_fmac_f32 v72, -0.5, v82 :: v_dual_fmac_f32 v77, 0xbf5db3d7, v35
	v_add_f32_e32 v28, v100, v107
	v_fmamk_f32 v31, v16, 0xbf5db3d7, v70
	v_fmac_f32_e32 v70, 0x3f5db3d7, v16
	v_fmamk_f32 v30, v17, 0xbf5db3d7, v78
	v_fmac_f32_e32 v78, 0x3f5db3d7, v17
	v_add_f32_e32 v17, v20, v25
	v_dual_sub_f32 v18, v19, v21 :: v_dual_fmamk_f32 v35, v102, 0xbf5db3d7, v99
	v_dual_fmamk_f32 v79, v80, 0x3f5db3d7, v71 :: v_dual_add_f32 v16, v19, v21
	v_sub_f32_e32 v19, v20, v25
	v_fmamk_f32 v25, v98, 0x3f5db3d7, v24
	v_dual_fmac_f32 v24, 0xbf5db3d7, v98 :: v_dual_mul_f32 v37, 0xbf5db3d7, v27
	v_dual_fmac_f32 v71, 0xbf5db3d7, v80 :: v_dual_fmamk_f32 v80, v83, 0xbf5db3d7, v72
	v_dual_add_f32 v21, v26, v28 :: v_dual_fmac_f32 v72, 0x3f5db3d7, v83
	v_dual_fmac_f32 v99, 0x3f5db3d7, v102 :: v_dual_add_f32 v20, v22, v23
	v_dual_mul_f32 v83, 0xbf5db3d7, v25 :: v_dual_sub_f32 v22, v22, v23
	v_fmac_f32_e32 v37, 0.5, v30
	v_dual_sub_f32 v23, v26, v28 :: v_dual_mul_f32 v28, 0x3f5db3d7, v30
	v_dual_mul_f32 v81, 0x3f5db3d7, v35 :: v_dual_mul_f32 v38, -0.5, v78
	v_mul_f32_e32 v82, -0.5, v24
	v_dual_mul_f32 v36, -0.5, v77 :: v_dual_fmac_f32 v83, 0.5, v35
	s_delay_alu instid0(VALU_DEP_3) | instskip(NEXT) | instid1(VALU_DEP_3)
	v_fmac_f32_e32 v81, 0.5, v25
	v_dual_add_f32 v25, v31, v37 :: v_dual_fmac_f32 v82, 0x3f5db3d7, v99
	v_fmac_f32_e32 v38, 0xbf5db3d7, v77
	v_mul_f32_e32 v84, -0.5, v99
	v_fmac_f32_e32 v28, 0.5, v27
	v_dual_fmac_f32 v36, 0x3f5db3d7, v78 :: v_dual_add_f32 v35, v79, v81
	s_delay_alu instid0(VALU_DEP_3) | instskip(NEXT) | instid1(VALU_DEP_3)
	v_dual_add_f32 v27, v70, v38 :: v_dual_fmac_f32 v84, 0xbf5db3d7, v24
	v_add_f32_e32 v24, v29, v28
	s_wait_alu 0xf1ff
	v_add_co_ci_u32_e64 v76, null, s11, 0, s2
	v_add_f32_e32 v26, v69, v36
	v_sub_f32_e32 v28, v29, v28
	v_dual_sub_f32 v30, v69, v36 :: v_dual_sub_f32 v29, v31, v37
	v_add_f32_e32 v37, v71, v82
	v_dual_sub_f32 v31, v70, v38 :: v_dual_add_f32 v36, v80, v83
	v_dual_sub_f32 v69, v79, v81 :: v_dual_add_f32 v38, v72, v84
	v_dual_sub_f32 v71, v71, v82 :: v_dual_sub_f32 v70, v80, v83
	v_sub_f32_e32 v72, v72, v84
	global_wb scope:SCOPE_SE
	s_barrier_signal -1
	s_barrier_wait -1
	global_inv scope:SCOPE_SE
	ds_store_2addr_b64 v95, v[16:17], v[24:25] offset1:6
	ds_store_2addr_b64 v95, v[26:27], v[18:19] offset0:12 offset1:18
	ds_store_2addr_b64 v95, v[28:29], v[30:31] offset0:24 offset1:30
	ds_store_2addr_b64 v94, v[20:21], v[35:36] offset1:6
	ds_store_2addr_b64 v94, v[37:38], v[22:23] offset0:12 offset1:18
	ds_store_2addr_b64 v94, v[69:70], v[71:72] offset0:24 offset1:30
	global_wb scope:SCOPE_SE
	s_wait_dscnt 0x0
	s_barrier_signal -1
	s_barrier_wait -1
	global_inv scope:SCOPE_SE
	s_clause 0x5
	global_load_b128 v[24:27], v[73:74], off offset:240
	global_load_b128 v[20:23], v[75:76], off offset:240
	;; [unrolled: 1-line block ×4, first 2 shown]
	global_load_b64 v[71:72], v[73:74], off offset:272
	global_load_b64 v[69:70], v[75:76], off offset:272
	ds_load_2addr_b64 v[35:38], v93 offset0:16 offset1:232
	ds_load_2addr_b64 v[77:80], v92 offset0:32 offset1:248
	;; [unrolled: 1-line block ×3, first 2 shown]
	ds_load_2addr_b64 v[100:103], v90 offset1:216
	ds_load_2addr_b64 v[104:107], v89 offset0:16 offset1:232
	ds_load_2addr_b64 v[108:111], v88 offset1:216
	v_add_lshl_u32 v99, v34, v32, 3
	v_lshlrev_b32_e32 v98, 3, v33
	v_mad_co_u64_u32 v[75:76], null, v87, 40, s[10:11]
	global_wb scope:SCOPE_SE
	s_wait_loadcnt_dscnt 0x0
	s_barrier_signal -1
	s_barrier_wait -1
	global_inv scope:SCOPE_SE
	s_add_nc_u64 s[2:3], s[8:9], 0x5100
	v_mul_f32_e32 v32, v36, v25
	v_mul_f32_e32 v73, v35, v25
	;; [unrolled: 1-line block ×3, first 2 shown]
	v_dual_mul_f32 v119, v102, v19 :: v_dual_mul_f32 v74, v37, v21
	v_mul_f32_e32 v117, v100, v31
	v_dual_mul_f32 v34, v78, v27 :: v_dual_mul_f32 v121, v104, v72
	v_mul_f32_e32 v39, v77, v27
	v_mul_f32_e32 v85, v80, v23
	v_dual_mul_f32 v86, v79, v23 :: v_dual_mul_f32 v123, v106, v70
	v_dual_mul_f32 v112, v82, v29 :: v_dual_fmac_f32 v73, v36, v24
	v_mul_f32_e32 v113, v81, v29
	v_dual_mul_f32 v115, v83, v17 :: v_dual_mul_f32 v116, v101, v31
	v_dual_mul_f32 v120, v105, v72 :: v_dual_fmac_f32 v119, v103, v18
	v_dual_mul_f32 v114, v84, v17 :: v_dual_fmac_f32 v39, v78, v26
	;; [unrolled: 1-line block ×3, first 2 shown]
	s_delay_alu instid0(VALU_DEP_4)
	v_dual_mul_f32 v118, v103, v19 :: v_dual_fmac_f32 v115, v84, v16
	v_fma_f32 v124, v35, v24, -v32
	v_fma_f32 v125, v37, v20, -v33
	v_dual_fmac_f32 v74, v38, v20 :: v_dual_fmac_f32 v117, v101, v30
	v_fma_f32 v32, v77, v26, -v34
	v_fma_f32 v33, v79, v22, -v85
	v_dual_fmac_f32 v86, v80, v22 :: v_dual_fmac_f32 v123, v107, v69
	v_fma_f32 v34, v81, v28, -v112
	v_fmac_f32_e32 v113, v82, v28
	v_fma_f32 v36, v100, v30, -v116
	v_fma_f32 v38, v104, v71, -v120
	;; [unrolled: 1-line block ×5, first 2 shown]
	v_dual_add_f32 v78, v108, v32 :: v_dual_add_f32 v81, v109, v39
	v_dual_add_f32 v79, v32, v36 :: v_dual_sub_f32 v80, v39, v117
	v_dual_add_f32 v39, v39, v117 :: v_dual_sub_f32 v32, v32, v36
	v_dual_add_f32 v82, v124, v34 :: v_dual_add_f32 v85, v73, v113
	v_dual_add_f32 v83, v34, v38 :: v_dual_sub_f32 v84, v113, v121
	v_dual_add_f32 v100, v113, v121 :: v_dual_sub_f32 v103, v86, v119
	v_dual_add_f32 v101, v110, v33 :: v_dual_add_f32 v104, v111, v86
	v_add_f32_e32 v86, v86, v119
	v_add_f32_e32 v112, v74, v115
	v_dual_add_f32 v113, v115, v123 :: v_dual_add_f32 v36, v78, v36
	v_dual_add_f32 v105, v125, v35 :: v_dual_add_f32 v106, v35, v77
	v_sub_f32_e32 v34, v34, v38
	v_dual_add_f32 v102, v33, v37 :: v_dual_sub_f32 v107, v115, v123
	v_sub_f32_e32 v35, v35, v77
	v_dual_add_f32 v78, v81, v117 :: v_dual_fmac_f32 v73, -0.5, v100
	v_dual_fmac_f32 v124, -0.5, v83 :: v_dual_fmac_f32 v111, -0.5, v86
	v_add_f32_e32 v81, v85, v121
	v_fma_f32 v85, -0.5, v79, v108
	v_fma_f32 v86, -0.5, v39, v109
	v_dual_add_f32 v39, v112, v123 :: v_dual_fmac_f32 v74, -0.5, v113
	v_dual_add_f32 v38, v82, v38 :: v_dual_add_f32 v83, v104, v119
	v_dual_add_f32 v82, v101, v37 :: v_dual_fmac_f32 v125, -0.5, v106
	v_sub_f32_e32 v33, v33, v37
	v_dual_add_f32 v77, v105, v77 :: v_dual_fmamk_f32 v100, v80, 0x3f5db3d7, v85
	v_fma_f32 v104, -0.5, v102, v110
	v_dual_fmac_f32 v85, 0xbf5db3d7, v80 :: v_dual_fmamk_f32 v80, v35, 0xbf5db3d7, v74
	v_fmamk_f32 v101, v32, 0xbf5db3d7, v86
	v_fmac_f32_e32 v86, 0x3f5db3d7, v32
	v_dual_fmamk_f32 v79, v84, 0x3f5db3d7, v124 :: v_dual_fmamk_f32 v102, v107, 0x3f5db3d7, v125
	v_dual_fmac_f32 v124, 0xbf5db3d7, v84 :: v_dual_fmac_f32 v125, 0xbf5db3d7, v107
	v_fmac_f32_e32 v74, 0x3f5db3d7, v35
	v_fmamk_f32 v84, v34, 0xbf5db3d7, v73
	v_fmac_f32_e32 v73, 0x3f5db3d7, v34
	v_dual_fmamk_f32 v105, v33, 0xbf5db3d7, v111 :: v_dual_add_f32 v32, v36, v38
	v_fmac_f32_e32 v111, 0x3f5db3d7, v33
	v_dual_add_f32 v33, v78, v81 :: v_dual_sub_f32 v34, v36, v38
	v_dual_sub_f32 v35, v78, v81 :: v_dual_fmamk_f32 v106, v103, 0x3f5db3d7, v104
	v_fmac_f32_e32 v104, 0xbf5db3d7, v103
	v_dual_add_f32 v36, v82, v77 :: v_dual_add_f32 v37, v83, v39
	v_dual_sub_f32 v38, v82, v77 :: v_dual_sub_f32 v39, v83, v39
	v_mul_f32_e32 v77, -0.5, v74
	v_dual_mul_f32 v103, -0.5, v124 :: v_dual_mul_f32 v82, 0xbf5db3d7, v79
	v_dual_mul_f32 v107, -0.5, v73 :: v_dual_mul_f32 v108, 0x3f5db3d7, v80
	v_mul_f32_e32 v81, 0x3f5db3d7, v84
	v_dual_mul_f32 v109, -0.5, v125 :: v_dual_mul_f32 v110, 0xbf5db3d7, v102
	s_delay_alu instid0(VALU_DEP_4) | instskip(NEXT) | instid1(VALU_DEP_3)
	v_dual_fmac_f32 v77, 0xbf5db3d7, v125 :: v_dual_fmac_f32 v82, 0.5, v84
	v_dual_fmac_f32 v108, 0.5, v102 :: v_dual_fmac_f32 v81, 0.5, v79
	s_delay_alu instid0(VALU_DEP_3) | instskip(NEXT) | instid1(VALU_DEP_3)
	v_dual_fmac_f32 v110, 0.5, v80 :: v_dual_fmac_f32 v103, 0x3f5db3d7, v73
	v_dual_add_f32 v80, v101, v82 :: v_dual_fmac_f32 v107, 0xbf5db3d7, v124
	s_delay_alu instid0(VALU_DEP_4) | instskip(NEXT) | instid1(VALU_DEP_4)
	v_dual_fmac_f32 v109, 0x3f5db3d7, v74 :: v_dual_sub_f32 v78, v111, v77
	v_dual_add_f32 v79, v100, v81 :: v_dual_sub_f32 v82, v101, v82
	v_add_f32_e32 v74, v111, v77
	s_delay_alu instid0(VALU_DEP_4)
	v_dual_sub_f32 v81, v100, v81 :: v_dual_add_f32 v84, v86, v107
	v_dual_add_f32 v83, v85, v103 :: v_dual_add_f32 v100, v106, v108
	v_dual_sub_f32 v85, v85, v103 :: v_dual_sub_f32 v102, v106, v108
	v_dual_sub_f32 v86, v86, v107 :: v_dual_add_f32 v73, v104, v109
	v_add_f32_e32 v101, v105, v110
	v_sub_f32_e32 v77, v104, v109
	v_sub_f32_e32 v103, v105, v110
	ds_store_2addr_b64 v99, v[32:33], v[79:80] offset1:36
	ds_store_2addr_b64 v99, v[83:84], v[34:35] offset0:72 offset1:108
	ds_store_2addr_b64 v99, v[81:82], v[85:86] offset0:144 offset1:180
	ds_store_2addr_b64 v98, v[36:37], v[100:101] offset1:36
	ds_store_2addr_b64 v98, v[73:74], v[38:39] offset0:72 offset1:108
	ds_store_2addr_b64 v98, v[102:103], v[77:78] offset0:144 offset1:180
	global_wb scope:SCOPE_SE
	s_wait_dscnt 0x0
	s_barrier_signal -1
	s_barrier_wait -1
	global_inv scope:SCOPE_SE
	s_clause 0x2
	global_load_b128 v[36:39], v[75:76], off offset:1680
	global_load_b128 v[32:35], v[75:76], off offset:1696
	global_load_b64 v[73:74], v[75:76], off offset:1712
	ds_load_2addr_b64 v[77:80], v93 offset0:16 offset1:232
	ds_load_2addr_b64 v[81:84], v92 offset0:32 offset1:248
	;; [unrolled: 1-line block ×3, first 2 shown]
	ds_load_2addr_b64 v[104:107], v90 offset1:216
	ds_load_2addr_b64 v[108:111], v89 offset0:16 offset1:232
	ds_load_2addr_b64 v[112:115], v88 offset1:216
	v_lshlrev_b32_e32 v85, 5, v87
	global_wb scope:SCOPE_SE
	s_wait_loadcnt_dscnt 0x0
	s_barrier_signal -1
	s_barrier_wait -1
	global_inv scope:SCOPE_SE
	v_mul_f32_e32 v86, v79, v37
	v_mul_f32_e32 v122, v101, v33
	v_sub_co_u32 v116, vcc_lo, v75, v85
	s_wait_alu 0xfffd
	v_subrev_co_ci_u32_e32 v117, vcc_lo, 0, v76, vcc_lo
	v_dual_mul_f32 v75, v78, v37 :: v_dual_mul_f32 v120, v84, v39
	v_dual_mul_f32 v85, v77, v37 :: v_dual_mul_f32 v128, v107, v35
	v_mul_f32_e32 v76, v80, v37
	v_mul_f32_e32 v118, v82, v39
	v_dual_mul_f32 v121, v83, v39 :: v_dual_mul_f32 v130, v109, v74
	v_dual_mul_f32 v119, v81, v39 :: v_dual_mul_f32 v124, v103, v33
	;; [unrolled: 1-line block ×4, first 2 shown]
	v_dual_mul_f32 v129, v106, v35 :: v_dual_fmac_f32 v86, v80, v36
	v_fma_f32 v134, v77, v36, -v75
	v_fma_f32 v135, v79, v36, -v76
	;; [unrolled: 1-line block ×7, first 2 shown]
	v_mul_f32_e32 v127, v104, v35
	v_fmac_f32_e32 v123, v101, v32
	v_fmac_f32_e32 v119, v82, v38
	v_fma_f32 v79, v104, v34, -v126
	v_mul_f32_e32 v131, v108, v74
	v_mul_f32_e32 v133, v110, v74
	v_fma_f32 v82, v110, v73, -v132
	v_add_f32_e32 v106, v77, v81
	v_dual_sub_f32 v100, v75, v79 :: v_dual_fmac_f32 v127, v105, v34
	v_sub_f32_e32 v120, v76, v80
	v_fmac_f32_e32 v85, v78, v36
	v_fma_f32 v78, v102, v32, -v124
	v_fmac_f32_e32 v125, v103, v32
	v_fmac_f32_e32 v133, v111, v73
	v_sub_f32_e32 v102, v119, v127
	s_delay_alu instid0(VALU_DEP_4)
	v_dual_add_f32 v83, v112, v75 :: v_dual_add_f32 v110, v78, v82
	v_dual_fmac_f32 v121, v84, v38 :: v_dual_add_f32 v84, v75, v79
	v_fmac_f32_e32 v131, v109, v73
	v_dual_add_f32 v104, v85, v123 :: v_dual_add_f32 v111, v135, v78
	v_sub_f32_e32 v122, v78, v82
	v_add_f32_e32 v78, v76, v80
	v_dual_add_f32 v76, v114, v76 :: v_dual_add_f32 v101, v119, v127
	v_dual_fmac_f32 v129, v107, v34 :: v_dual_add_f32 v118, v125, v133
	v_add_f32_e32 v75, v113, v119
	v_dual_add_f32 v105, v134, v77 :: v_dual_sub_f32 v108, v123, v131
	v_dual_fmac_f32 v134, -0.5, v106 :: v_dual_add_f32 v109, v115, v121
	v_add_f32_e32 v103, v123, v131
	v_fma_f32 v106, -0.5, v84, v112
	v_dual_add_f32 v119, v86, v125 :: v_dual_add_f32 v84, v76, v80
	v_fma_f32 v112, -0.5, v101, v113
	v_fmac_f32_e32 v135, -0.5, v110
	v_fmac_f32_e32 v86, -0.5, v118
	v_fma_f32 v110, -0.5, v78, v114
	v_fmac_f32_e32 v85, -0.5, v103
	v_dual_add_f32 v103, v104, v131 :: v_dual_add_f32 v104, v109, v129
	v_fmamk_f32 v113, v100, 0xbf5db3d7, v112
	v_fmac_f32_e32 v112, 0x3f5db3d7, v100
	v_dual_add_f32 v82, v111, v82 :: v_dual_fmamk_f32 v111, v102, 0x3f5db3d7, v106
	v_dual_fmac_f32 v106, 0xbf5db3d7, v102 :: v_dual_add_f32 v101, v119, v133
	v_add_f32_e32 v79, v83, v79
	v_add_f32_e32 v83, v75, v127
	v_sub_f32_e32 v107, v77, v81
	v_add_f32_e32 v77, v121, v129
	v_fmamk_f32 v109, v108, 0x3f5db3d7, v134
	v_fmac_f32_e32 v134, 0xbf5db3d7, v108
	v_dual_sub_f32 v78, v83, v103 :: v_dual_sub_f32 v121, v121, v129
	s_delay_alu instid0(VALU_DEP_4) | instskip(SKIP_1) | instid1(VALU_DEP_4)
	v_fmac_f32_e32 v115, -0.5, v77
	v_add_f32_e32 v80, v104, v101
	v_dual_mul_f32 v108, -0.5, v134 :: v_dual_sub_f32 v123, v125, v133
	s_delay_alu instid0(VALU_DEP_3) | instskip(NEXT) | instid1(VALU_DEP_2)
	v_dual_fmamk_f32 v114, v120, 0xbf5db3d7, v115 :: v_dual_add_f32 v81, v105, v81
	v_fmamk_f32 v100, v123, 0x3f5db3d7, v135
	s_delay_alu instid0(VALU_DEP_2)
	v_add_f32_e32 v75, v79, v81
	v_sub_f32_e32 v77, v79, v81
	v_add_f32_e32 v79, v84, v82
	v_sub_f32_e32 v81, v84, v82
	v_sub_f32_e32 v82, v104, v101
	v_dual_add_f32 v76, v83, v103 :: v_dual_fmamk_f32 v83, v122, 0xbf5db3d7, v86
	v_fmac_f32_e32 v86, 0x3f5db3d7, v122
	v_fmamk_f32 v118, v121, 0x3f5db3d7, v110
	v_dual_fmamk_f32 v105, v107, 0xbf5db3d7, v85 :: v_dual_mul_f32 v122, 0xbf5db3d7, v100
	v_fmac_f32_e32 v110, 0xbf5db3d7, v121
	s_delay_alu instid0(VALU_DEP_2) | instskip(SKIP_2) | instid1(VALU_DEP_3)
	v_dual_mul_f32 v121, 0x3f5db3d7, v83 :: v_dual_mul_f32 v102, 0x3f5db3d7, v105
	v_fmac_f32_e32 v85, 0x3f5db3d7, v107
	v_mul_f32_e32 v107, 0xbf5db3d7, v109
	v_fmac_f32_e32 v121, 0.5, v100
	v_dual_mul_f32 v103, -0.5, v86 :: v_dual_fmac_f32 v122, 0.5, v83
	s_delay_alu instid0(VALU_DEP_3) | instskip(NEXT) | instid1(VALU_DEP_1)
	v_fmac_f32_e32 v107, 0.5, v105
	v_add_f32_e32 v84, v113, v107
	v_dual_fmac_f32 v102, 0.5, v109 :: v_dual_fmac_f32 v115, 0x3f5db3d7, v120
	v_fmac_f32_e32 v108, 0x3f5db3d7, v85
	v_fmac_f32_e32 v135, 0xbf5db3d7, v123
	v_mul_f32_e32 v119, -0.5, v85
	v_add_f32_e32 v109, v114, v122
	s_delay_alu instid0(VALU_DEP_4) | instskip(SKIP_1) | instid1(VALU_DEP_4)
	v_add_f32_e32 v85, v106, v108
	v_sub_f32_e32 v106, v106, v108
	v_dual_mul_f32 v120, -0.5, v135 :: v_dual_fmac_f32 v119, 0xbf5db3d7, v134
	v_dual_add_f32 v108, v118, v121 :: v_dual_fmac_f32 v103, 0xbf5db3d7, v135
	s_delay_alu instid0(VALU_DEP_2) | instskip(NEXT) | instid1(VALU_DEP_3)
	v_fmac_f32_e32 v120, 0x3f5db3d7, v86
	v_dual_add_f32 v86, v112, v119 :: v_dual_add_f32 v83, v111, v102
	v_dual_sub_f32 v104, v111, v102 :: v_dual_sub_f32 v105, v113, v107
	s_delay_alu instid0(VALU_DEP_3)
	v_add_f32_e32 v100, v110, v120
	v_sub_f32_e32 v102, v110, v120
	v_dual_sub_f32 v110, v118, v121 :: v_dual_sub_f32 v107, v112, v119
	v_add_f32_e32 v101, v115, v103
	v_sub_f32_e32 v103, v115, v103
	v_sub_f32_e32 v111, v114, v122
	ds_store_2addr_b64 v88, v[75:76], v[83:84] offset1:216
	ds_store_2addr_b64 v93, v[85:86], v[77:78] offset0:16 offset1:232
	ds_store_2addr_b64 v92, v[104:105], v[106:107] offset0:32 offset1:248
	;; [unrolled: 1-line block ×3, first 2 shown]
	ds_store_2addr_b64 v90, v[100:101], v[81:82] offset1:216
	ds_store_2addr_b64 v89, v[110:111], v[102:103] offset0:16 offset1:232
	global_wb scope:SCOPE_SE
	s_wait_dscnt 0x0
	s_barrier_signal -1
	s_barrier_wait -1
	global_inv scope:SCOPE_SE
	s_clause 0x5
	global_load_b64 v[75:76], v[116:117], off offset:10320
	global_load_b64 v[77:78], v[116:117], off offset:12048
	;; [unrolled: 1-line block ×6, first 2 shown]
	ds_load_2addr_b64 v[102:105], v91 offset0:16 offset1:232
	ds_load_2addr_b64 v[106:109], v90 offset1:216
	ds_load_2addr_b64 v[110:113], v89 offset0:16 offset1:232
	ds_load_2addr_b64 v[114:117], v88 offset1:216
	ds_load_2addr_b64 v[118:121], v93 offset0:16 offset1:232
	ds_load_2addr_b64 v[122:125], v92 offset0:32 offset1:248
	v_add_nc_u32_e32 v100, 0x2f00, v88
	v_add_nc_u32_e32 v101, 0x3c00, v88
	s_wait_loadcnt_dscnt 0x505
	v_mul_f32_e32 v126, v103, v76
	s_wait_loadcnt 0x4
	v_dual_mul_f32 v127, v102, v76 :: v_dual_mul_f32 v128, v105, v78
	s_wait_loadcnt_dscnt 0x304
	v_dual_mul_f32 v129, v104, v78 :: v_dual_mul_f32 v130, v107, v80
	s_wait_loadcnt 0x2
	v_dual_mul_f32 v131, v106, v80 :: v_dual_mul_f32 v132, v109, v82
	v_mul_f32_e32 v133, v108, v82
	s_wait_loadcnt_dscnt 0x103
	v_mul_f32_e32 v134, v111, v86
	s_wait_loadcnt 0x0
	v_dual_mul_f32 v135, v110, v86 :: v_dual_mul_f32 v136, v113, v84
	v_mul_f32_e32 v137, v112, v84
	v_fma_f32 v102, v102, v75, -v126
	v_fmac_f32_e32 v127, v103, v75
	v_fma_f32 v104, v104, v77, -v128
	v_fmac_f32_e32 v129, v105, v77
	;; [unrolled: 2-line block ×5, first 2 shown]
	v_fma_f32 v112, v112, v83, -v136
	s_wait_dscnt 0x2
	v_dual_fmac_f32 v137, v113, v83 :: v_dual_sub_f32 v102, v114, v102
	v_dual_sub_f32 v103, v115, v127 :: v_dual_sub_f32 v104, v116, v104
	s_wait_dscnt 0x1
	v_dual_sub_f32 v105, v117, v129 :: v_dual_sub_f32 v106, v118, v106
	v_dual_sub_f32 v107, v119, v131 :: v_dual_sub_f32 v108, v120, v108
	s_wait_dscnt 0x0
	v_dual_sub_f32 v109, v121, v133 :: v_dual_sub_f32 v110, v122, v110
	v_dual_sub_f32 v111, v123, v135 :: v_dual_sub_f32 v112, v124, v112
	v_sub_f32_e32 v113, v125, v137
	v_fma_f32 v114, v114, 2.0, -v102
	v_fma_f32 v115, v115, 2.0, -v103
	;; [unrolled: 1-line block ×12, first 2 shown]
	ds_store_b64 v88, v[102:103] offset:10368
	ds_store_2addr_b64 v88, v[114:115], v[116:117] offset1:216
	ds_store_2addr_b64 v100, v[104:105], v[106:107] offset0:8 offset1:224
	ds_store_2addr_b64 v93, v[118:119], v[120:121] offset0:16 offset1:232
	;; [unrolled: 1-line block ×4, first 2 shown]
	ds_store_b64 v88, v[112:113] offset:19008
	global_wb scope:SCOPE_SE
	s_wait_dscnt 0x0
	s_barrier_signal -1
	s_barrier_wait -1
	global_inv scope:SCOPE_SE
	s_clause 0xb
	global_load_b64 v[106:107], v88, s[8:9] offset:20736
	global_load_b64 v[114:115], v88, s[2:3] offset:1728
	;; [unrolled: 1-line block ×12, first 2 shown]
	ds_load_2addr_b64 v[102:105], v88 offset1:216
	s_mov_b32 s2, 0xfcd6e9e0
	s_mov_b32 s3, 0x3f3948b0
	s_wait_loadcnt_dscnt 0xa00
	v_mul_f32_e32 v137, v104, v115
	s_delay_alu instid0(VALU_DEP_1) | instskip(SKIP_2) | instid1(VALU_DEP_2)
	v_fmac_f32_e32 v137, v105, v114
	v_mul_f32_e32 v109, v103, v107
	v_mul_f32_e32 v108, v102, v107
	v_fma_f32 v107, v102, v106, -v109
	s_delay_alu instid0(VALU_DEP_2)
	v_fmac_f32_e32 v108, v103, v106
	v_mul_f32_e32 v102, v105, v115
	ds_store_b64 v88, v[107:108]
	ds_load_2addr_b64 v[106:109], v93 offset0:16 offset1:232
	ds_load_2addr_b64 v[110:113], v92 offset0:32 offset1:248
	v_fma_f32 v136, v104, v114, -v102
	ds_load_2addr_b64 v[102:105], v91 offset0:16 offset1:232
	s_wait_loadcnt_dscnt 0x902
	v_mul_f32_e32 v138, v107, v117
	v_mul_f32_e32 v115, v106, v117
	s_wait_loadcnt 0x8
	v_mul_f32_e32 v117, v108, v119
	s_delay_alu instid0(VALU_DEP_3)
	v_fma_f32 v114, v106, v116, -v138
	v_mul_f32_e32 v106, v109, v119
	s_wait_loadcnt_dscnt 0x701
	v_mul_f32_e32 v138, v111, v121
	v_fmac_f32_e32 v115, v107, v116
	v_fmac_f32_e32 v117, v109, v118
	v_mul_f32_e32 v119, v110, v121
	v_fma_f32 v116, v108, v118, -v106
	ds_load_2addr_b64 v[106:109], v90 offset1:216
	v_fma_f32 v118, v110, v120, -v138
	s_wait_loadcnt 0x6
	v_mul_f32_e32 v110, v113, v123
	v_mul_f32_e32 v121, v112, v123
	v_fmac_f32_e32 v119, v111, v120
	s_wait_loadcnt_dscnt 0x501
	v_mul_f32_e32 v138, v103, v125
	v_mul_f32_e32 v123, v102, v125
	v_fma_f32 v120, v112, v122, -v110
	v_fmac_f32_e32 v121, v113, v122
	ds_load_2addr_b64 v[110:113], v89 offset0:16 offset1:232
	v_fma_f32 v122, v102, v124, -v138
	s_wait_loadcnt 0x4
	v_dual_mul_f32 v102, v105, v127 :: v_dual_fmac_f32 v123, v103, v124
	v_mul_f32_e32 v103, v104, v127
	v_add_nc_u32_e32 v127, 0x1400, v88
	s_delay_alu instid0(VALU_DEP_3) | instskip(NEXT) | instid1(VALU_DEP_3)
	v_fma_f32 v102, v104, v126, -v102
	v_dual_fmac_f32 v103, v105, v126 :: v_dual_add_nc_u32 v126, 0x600, v88
	s_wait_loadcnt_dscnt 0x301
	v_mul_f32_e32 v104, v107, v129
	s_wait_loadcnt 0x2
	v_dual_mul_f32 v105, v106, v129 :: v_dual_mul_f32 v124, v109, v131
	v_mul_f32_e32 v125, v108, v131
	s_delay_alu instid0(VALU_DEP_3) | instskip(NEXT) | instid1(VALU_DEP_3)
	v_fma_f32 v104, v106, v128, -v104
	v_fmac_f32_e32 v105, v107, v128
	s_delay_alu instid0(VALU_DEP_4)
	v_fma_f32 v124, v108, v130, -v124
	s_wait_loadcnt_dscnt 0x100
	v_dual_fmac_f32 v125, v109, v130 :: v_dual_mul_f32 v106, v111, v133
	s_wait_loadcnt 0x0
	v_dual_mul_f32 v107, v110, v133 :: v_dual_mul_f32 v108, v113, v135
	v_dual_mul_f32 v109, v112, v135 :: v_dual_add_nc_u32 v128, 0x2100, v88
	s_delay_alu instid0(VALU_DEP_3) | instskip(NEXT) | instid1(VALU_DEP_3)
	v_fma_f32 v106, v110, v132, -v106
	v_fmac_f32_e32 v107, v111, v132
	s_delay_alu instid0(VALU_DEP_4) | instskip(NEXT) | instid1(VALU_DEP_4)
	v_fma_f32 v108, v112, v134, -v108
	v_fmac_f32_e32 v109, v113, v134
	ds_store_2addr_b64 v126, v[136:137], v[114:115] offset0:24 offset1:240
	ds_store_2addr_b64 v127, v[116:117], v[118:119] offset0:8 offset1:224
	;; [unrolled: 1-line block ×5, first 2 shown]
	ds_store_b64 v88, v[108:109] offset:19008
	global_wb scope:SCOPE_SE
	s_wait_dscnt 0x0
	s_barrier_signal -1
	s_barrier_wait -1
	global_inv scope:SCOPE_SE
	ds_load_2addr_b64 v[102:105], v91 offset0:16 offset1:232
	ds_load_2addr_b64 v[106:109], v89 offset0:16 offset1:232
	ds_load_2addr_b64 v[110:113], v88 offset1:216
	ds_load_2addr_b64 v[114:117], v92 offset0:32 offset1:248
	ds_load_2addr_b64 v[118:121], v90 offset1:216
	ds_load_2addr_b64 v[122:125], v93 offset0:16 offset1:232
	global_wb scope:SCOPE_SE
	s_wait_dscnt 0x0
	s_barrier_signal -1
	s_barrier_wait -1
	global_inv scope:SCOPE_SE
	v_add_f32_e32 v126, v102, v106
	v_sub_f32_e32 v136, v102, v106
	v_add_f32_e32 v128, v110, v114
	v_add_f32_e32 v130, v114, v118
	v_dual_sub_f32 v133, v114, v118 :: v_dual_add_f32 v114, v112, v116
	v_add_f32_e32 v129, v111, v115
	v_add_f32_e32 v131, v115, v119
	v_sub_f32_e32 v132, v115, v119
	v_dual_add_f32 v134, v116, v120 :: v_dual_add_f32 v115, v113, v117
	v_sub_f32_e32 v135, v117, v121
	v_dual_add_f32 v117, v117, v121 :: v_dual_sub_f32 v116, v116, v120
	v_add_f32_e32 v120, v114, v120
	v_add_f32_e32 v114, v124, v104
	v_fma_f32 v110, -0.5, v130, v110
	v_add_f32_e32 v102, v122, v102
	v_fma_f32 v122, -0.5, v126, v122
	v_fmac_f32_e32 v113, -0.5, v117
	v_dual_add_f32 v127, v103, v107 :: v_dual_add_f32 v126, v114, v108
	v_fmamk_f32 v117, v132, 0xbf5db3d7, v110
	v_dual_fmac_f32 v110, 0x3f5db3d7, v132 :: v_dual_add_f32 v119, v129, v119
	v_add_f32_e32 v129, v105, v109
	v_dual_sub_f32 v137, v103, v107 :: v_dual_add_f32 v118, v128, v118
	v_add_f32_e32 v121, v115, v121
	v_add_f32_e32 v103, v123, v103
	v_dual_add_f32 v115, v104, v108 :: v_dual_add_f32 v128, v125, v105
	v_dual_sub_f32 v104, v104, v108 :: v_dual_fmac_f32 v125, -0.5, v129
	v_add_f32_e32 v114, v120, v126
	v_sub_f32_e32 v120, v120, v126
	v_fmamk_f32 v126, v116, 0x3f5db3d7, v113
	v_fma_f32 v123, -0.5, v127, v123
	v_dual_add_f32 v106, v102, v106 :: v_dual_add_f32 v127, v128, v109
	v_fmamk_f32 v128, v104, 0x3f5db3d7, v125
	v_fmac_f32_e32 v125, 0xbf5db3d7, v104
	s_delay_alu instid0(VALU_DEP_4) | instskip(NEXT) | instid1(VALU_DEP_4)
	v_fmamk_f32 v104, v136, 0x3f5db3d7, v123
	v_add_f32_e32 v102, v118, v106
	v_sub_f32_e32 v108, v118, v106
	v_dual_fmamk_f32 v106, v137, 0xbf5db3d7, v122 :: v_dual_fmac_f32 v113, 0xbf5db3d7, v116
	s_delay_alu instid0(VALU_DEP_4) | instskip(SKIP_3) | instid1(VALU_DEP_4)
	v_dual_mul_f32 v116, 0xbf5db3d7, v104 :: v_dual_add_f32 v107, v103, v107
	v_fmac_f32_e32 v123, 0xbf5db3d7, v136
	v_sub_f32_e32 v105, v105, v109
	v_fma_f32 v124, -0.5, v115, v124
	v_dual_fmac_f32 v116, 0.5, v106 :: v_dual_add_f32 v103, v119, v107
	v_sub_f32_e32 v109, v119, v107
	v_dual_mul_f32 v119, 0.5, v104 :: v_dual_mul_f32 v130, -0.5, v123
	s_delay_alu instid0(VALU_DEP_3) | instskip(SKIP_4) | instid1(VALU_DEP_4)
	v_add_f32_e32 v104, v117, v116
	v_fmac_f32_e32 v122, 0x3f5db3d7, v137
	v_mul_f32_e32 v129, 0xbf5db3d7, v125
	v_dual_mul_f32 v138, -0.5, v125 :: v_dual_mul_f32 v125, 0xbf5db3d7, v123
	v_fma_f32 v112, -0.5, v134, v112
	v_fmac_f32_e32 v130, 0x3f5db3d7, v122
	v_fma_f32 v111, -0.5, v131, v111
	v_fmamk_f32 v107, v105, 0xbf5db3d7, v124
	v_mul_f32_e32 v131, 0xbf5db3d7, v128
	v_mul_f32_e32 v128, 0.5, v128
	v_fmac_f32_e32 v124, 0x3f5db3d7, v105
	v_fmamk_f32 v118, v133, 0x3f5db3d7, v111
	v_fmac_f32_e32 v119, 0x3f5db3d7, v106
	v_fmac_f32_e32 v111, 0xbf5db3d7, v133
	v_fmac_f32_e32 v125, -0.5, v122
	v_fmac_f32_e32 v131, 0.5, v107
	v_fmac_f32_e32 v128, 0x3f5db3d7, v107
	v_sub_f32_e32 v122, v117, v116
	v_add_f32_e32 v115, v121, v127
	v_sub_f32_e32 v121, v121, v127
	v_fmamk_f32 v127, v135, 0xbf5db3d7, v112
	v_fmac_f32_e32 v112, 0x3f5db3d7, v135
	v_fmac_f32_e32 v138, 0x3f5db3d7, v124
	v_fmac_f32_e32 v129, -0.5, v124
	v_add_f32_e32 v105, v118, v119
	v_dual_add_f32 v106, v110, v125 :: v_dual_add_f32 v107, v111, v130
	v_sub_f32_e32 v124, v110, v125
	v_sub_f32_e32 v123, v118, v119
	;; [unrolled: 1-line block ×3, first 2 shown]
	v_dual_add_f32 v116, v127, v131 :: v_dual_add_f32 v117, v126, v128
	v_dual_add_f32 v119, v113, v138 :: v_dual_add_f32 v118, v112, v129
	v_dual_sub_f32 v113, v113, v138 :: v_dual_sub_f32 v110, v127, v131
	v_dual_sub_f32 v112, v112, v129 :: v_dual_sub_f32 v111, v126, v128
	ds_store_b128 v97, v[102:105]
	ds_store_b128 v97, v[106:109] offset:16
	ds_store_b128 v97, v[122:125] offset:32
	ds_store_b128 v96, v[114:117]
	ds_store_b128 v96, v[118:121] offset:16
	ds_store_b128 v96, v[110:113] offset:32
	global_wb scope:SCOPE_SE
	s_wait_dscnt 0x0
	s_barrier_signal -1
	s_barrier_wait -1
	global_inv scope:SCOPE_SE
	ds_load_2addr_b64 v[102:105], v93 offset0:16 offset1:232
	ds_load_2addr_b64 v[106:109], v92 offset0:32 offset1:248
	;; [unrolled: 1-line block ×3, first 2 shown]
	ds_load_2addr_b64 v[114:117], v90 offset1:216
	ds_load_2addr_b64 v[118:121], v89 offset0:16 offset1:232
	ds_load_2addr_b64 v[122:125], v88 offset1:216
	global_wb scope:SCOPE_SE
	s_wait_dscnt 0x0
	s_barrier_signal -1
	s_barrier_wait -1
	global_inv scope:SCOPE_SE
	v_mul_f32_e32 v96, v9, v103
	v_mul_f32_e32 v9, v9, v102
	;; [unrolled: 1-line block ×3, first 2 shown]
	v_dual_mul_f32 v11, v11, v106 :: v_dual_mul_f32 v126, v13, v105
	v_mul_f32_e32 v130, v5, v113
	v_mul_f32_e32 v127, v15, v109
	v_dual_mul_f32 v15, v15, v108 :: v_dual_fmac_f32 v96, v8, v102
	v_fma_f32 v8, v8, v103, -v9
	v_fmac_f32_e32 v97, v10, v106
	v_fma_f32 v9, v10, v107, -v11
	v_mul_f32_e32 v10, v66, v119
	v_dual_mul_f32 v11, v66, v118 :: v_dual_mul_f32 v66, v68, v121
	v_fmac_f32_e32 v126, v12, v104
	v_fmac_f32_e32 v130, v4, v112
	v_dual_mul_f32 v128, v1, v111 :: v_dual_fmac_f32 v127, v14, v108
	v_fma_f32 v14, v14, v109, -v15
	s_delay_alu instid0(VALU_DEP_3) | instskip(SKIP_1) | instid1(VALU_DEP_4)
	v_dual_fmac_f32 v66, v67, v120 :: v_dual_add_f32 v15, v126, v130
	v_mul_f32_e32 v1, v1, v110
	v_fmac_f32_e32 v128, v0, v110
	v_fmac_f32_e32 v10, v65, v118
	s_delay_alu instid0(VALU_DEP_4) | instskip(SKIP_2) | instid1(VALU_DEP_4)
	v_dual_add_f32 v106, v122, v97 :: v_dual_add_f32 v15, v15, v66
	v_mul_f32_e32 v131, v7, v117
	v_fma_f32 v0, v0, v111, -v1
	v_add_f32_e32 v111, v128, v10
	v_mul_f32_e32 v7, v7, v116
	v_add_f32_e32 v108, v96, v128
	v_fmac_f32_e32 v131, v6, v116
	s_delay_alu instid0(VALU_DEP_4) | instskip(SKIP_2) | instid1(VALU_DEP_4)
	v_dual_add_f32 v109, v8, v0 :: v_dual_fmac_f32 v96, -0.5, v111
	v_mul_f32_e32 v129, v3, v115
	v_mul_f32_e32 v3, v3, v114
	v_add_f32_e32 v103, v127, v131
	v_add_f32_e32 v107, v123, v9
	s_delay_alu instid0(VALU_DEP_4) | instskip(NEXT) | instid1(VALU_DEP_4)
	v_fmac_f32_e32 v129, v2, v114
	v_fma_f32 v1, v2, v115, -v3
	v_fma_f32 v3, v6, v117, -v7
	v_fma_f32 v103, -0.5, v103, v124
	v_dual_mul_f32 v5, v5, v112 :: v_dual_sub_f32 v112, v128, v10
	v_add_f32_e32 v10, v108, v10
	s_delay_alu instid0(VALU_DEP_4) | instskip(NEXT) | instid1(VALU_DEP_3)
	v_add_f32_e32 v6, v14, v3
	v_fma_f32 v2, v4, v113, -v5
	v_fma_f32 v5, v65, v119, -v11
	v_add_f32_e32 v11, v125, v14
	s_delay_alu instid0(VALU_DEP_4) | instskip(NEXT) | instid1(VALU_DEP_3)
	v_dual_fmac_f32 v125, -0.5, v6 :: v_dual_add_f32 v6, v106, v129
	v_dual_mul_f32 v13, v13, v104 :: v_dual_sub_f32 v110, v0, v5
	v_add_f32_e32 v0, v0, v5
	v_dual_sub_f32 v14, v14, v3 :: v_dual_add_f32 v5, v109, v5
	s_delay_alu instid0(VALU_DEP_2) | instskip(SKIP_3) | instid1(VALU_DEP_2)
	v_dual_add_f32 v11, v11, v3 :: v_dual_fmac_f32 v8, -0.5, v0
	v_add_f32_e32 v0, v6, v10
	v_fma_f32 v12, v12, v105, -v13
	v_dual_mul_f32 v13, v68, v120 :: v_dual_sub_f32 v68, v130, v66
	v_add_f32_e32 v65, v12, v2
	s_delay_alu instid0(VALU_DEP_2) | instskip(SKIP_1) | instid1(VALU_DEP_1)
	v_fma_f32 v4, v67, v121, -v13
	v_sub_f32_e32 v67, v127, v131
	v_dual_add_f32 v13, v2, v4 :: v_dual_fmamk_f32 v106, v67, 0x3f5db3d7, v125
	v_dual_fmac_f32 v125, 0xbf5db3d7, v67 :: v_dual_sub_f32 v2, v2, v4
	s_delay_alu instid0(VALU_DEP_2) | instskip(NEXT) | instid1(VALU_DEP_1)
	v_dual_add_f32 v65, v65, v4 :: v_dual_fmac_f32 v12, -0.5, v13
	v_fmamk_f32 v67, v68, 0x3f5db3d7, v12
	v_dual_fmac_f32 v12, 0xbf5db3d7, v68 :: v_dual_add_f32 v7, v130, v66
	s_delay_alu instid0(VALU_DEP_1) | instskip(NEXT) | instid1(VALU_DEP_2)
	v_dual_mul_f32 v109, 0.5, v67 :: v_dual_mul_f32 v108, 0xbf5db3d7, v12
	v_dual_fmac_f32 v126, -0.5, v7 :: v_dual_add_f32 v7, v107, v1
	s_delay_alu instid0(VALU_DEP_1) | instskip(NEXT) | instid1(VALU_DEP_2)
	v_dual_mul_f32 v107, 0xbf5db3d7, v67 :: v_dual_fmamk_f32 v66, v2, 0xbf5db3d7, v126
	v_dual_fmac_f32 v126, 0x3f5db3d7, v2 :: v_dual_sub_f32 v3, v7, v5
	v_sub_f32_e32 v2, v6, v10
	s_delay_alu instid0(VALU_DEP_3) | instskip(NEXT) | instid1(VALU_DEP_3)
	v_fmac_f32_e32 v107, 0.5, v66
	v_fmac_f32_e32 v108, -0.5, v126
	v_dual_add_f32 v102, v124, v127 :: v_dual_fmac_f32 v109, 0x3f5db3d7, v66
	s_delay_alu instid0(VALU_DEP_1)
	v_add_f32_e32 v13, v102, v131
	v_dual_fmamk_f32 v102, v14, 0xbf5db3d7, v103 :: v_dual_add_f32 v105, v9, v1
	v_fmac_f32_e32 v103, 0x3f5db3d7, v14
	v_sub_f32_e32 v9, v9, v1
	v_add_f32_e32 v1, v7, v5
	v_add_f32_e32 v5, v11, v65
	v_sub_f32_e32 v7, v11, v65
	v_fmamk_f32 v11, v112, 0x3f5db3d7, v8
	v_fmac_f32_e32 v8, 0xbf5db3d7, v112
	v_add_f32_e32 v4, v13, v15
	v_dual_sub_f32 v6, v13, v15 :: v_dual_mul_f32 v13, -0.5, v12
	s_delay_alu instid0(VALU_DEP_4) | instskip(NEXT) | instid1(VALU_DEP_4)
	v_mul_f32_e32 v14, 0xbf5db3d7, v11
	v_mul_f32_e32 v68, 0xbf5db3d7, v8
	v_mul_f32_e32 v8, -0.5, v8
	v_add_f32_e32 v104, v97, v129
	v_sub_f32_e32 v97, v97, v129
	v_mul_f32_e32 v65, 0.5, v11
	v_fmac_f32_e32 v13, 0x3f5db3d7, v126
	s_delay_alu instid0(VALU_DEP_4) | instskip(NEXT) | instid1(VALU_DEP_2)
	v_fma_f32 v104, -0.5, v104, v122
	v_sub_f32_e32 v11, v125, v13
	s_delay_alu instid0(VALU_DEP_2) | instskip(SKIP_3) | instid1(VALU_DEP_2)
	v_fmamk_f32 v10, v9, 0xbf5db3d7, v104
	v_fmac_f32_e32 v104, 0x3f5db3d7, v9
	v_fmamk_f32 v9, v110, 0xbf5db3d7, v96
	v_fmac_f32_e32 v96, 0x3f5db3d7, v110
	v_fmac_f32_e32 v14, 0.5, v9
	s_delay_alu instid0(VALU_DEP_2)
	v_fmac_f32_e32 v68, -0.5, v96
	v_fmac_f32_e32 v8, 0x3f5db3d7, v96
	v_add_f32_e32 v96, v102, v107
	v_fma_f32 v105, -0.5, v105, v123
	v_dual_fmac_f32 v65, 0x3f5db3d7, v9 :: v_dual_add_f32 v12, v10, v14
	v_sub_f32_e32 v14, v10, v14
	s_delay_alu instid0(VALU_DEP_3)
	v_dual_sub_f32 v10, v103, v108 :: v_dual_fmamk_f32 v15, v97, 0x3f5db3d7, v105
	v_fmac_f32_e32 v105, 0xbf5db3d7, v97
	v_add_f32_e32 v9, v125, v13
	v_sub_f32_e32 v67, v104, v68
	v_add_f32_e32 v97, v106, v109
	v_add_f32_e32 v13, v15, v65
	v_sub_f32_e32 v15, v15, v65
	v_add_f32_e32 v65, v104, v68
	;; [unrolled: 3-line block ×3, first 2 shown]
	v_sub_f32_e32 v102, v102, v107
	v_sub_f32_e32 v103, v106, v109
	ds_store_2addr_b64 v95, v[0:1], v[12:13] offset1:6
	ds_store_2addr_b64 v95, v[65:66], v[2:3] offset0:12 offset1:18
	ds_store_2addr_b64 v95, v[14:15], v[67:68] offset0:24 offset1:30
	ds_store_2addr_b64 v94, v[4:5], v[96:97] offset1:6
	ds_store_2addr_b64 v94, v[8:9], v[6:7] offset0:12 offset1:18
	ds_store_2addr_b64 v94, v[102:103], v[10:11] offset0:24 offset1:30
	global_wb scope:SCOPE_SE
	s_wait_dscnt 0x0
	s_barrier_signal -1
	s_barrier_wait -1
	global_inv scope:SCOPE_SE
	ds_load_2addr_b64 v[0:3], v93 offset0:16 offset1:232
	ds_load_2addr_b64 v[4:7], v92 offset0:32 offset1:248
	;; [unrolled: 1-line block ×3, first 2 shown]
	ds_load_2addr_b64 v[12:15], v90 offset1:216
	ds_load_2addr_b64 v[65:68], v89 offset0:16 offset1:232
	ds_load_2addr_b64 v[94:97], v88 offset1:216
	global_wb scope:SCOPE_SE
	s_wait_dscnt 0x0
	s_barrier_signal -1
	s_barrier_wait -1
	global_inv scope:SCOPE_SE
	v_mul_f32_e32 v107, v21, v3
	v_mul_f32_e32 v108, v23, v7
	;; [unrolled: 1-line block ×3, first 2 shown]
	v_dual_mul_f32 v110, v19, v15 :: v_dual_mul_f32 v21, v21, v2
	v_mul_f32_e32 v23, v23, v6
	v_mul_f32_e32 v19, v19, v14
	v_fmac_f32_e32 v108, v22, v6
	s_delay_alu instid0(VALU_DEP_4)
	v_dual_fmac_f32 v110, v18, v14 :: v_dual_mul_f32 v29, v29, v8
	v_mul_f32_e32 v106, v72, v66
	v_fmac_f32_e32 v104, v28, v8
	v_fmac_f32_e32 v107, v20, v2
	v_fma_f32 v8, v20, v3, -v21
	v_fma_f32 v3, v22, v7, -v23
	v_fma_f32 v6, v18, v15, -v19
	v_add_f32_e32 v20, v108, v110
	v_dual_mul_f32 v72, v72, v65 :: v_dual_mul_f32 v109, v17, v11
	v_fmac_f32_e32 v106, v71, v65
	s_delay_alu instid0(VALU_DEP_4) | instskip(NEXT) | instid1(VALU_DEP_4)
	v_sub_f32_e32 v21, v3, v6
	v_fma_f32 v65, -0.5, v20, v96
	v_mul_f32_e32 v102, v25, v1
	v_mul_f32_e32 v25, v25, v0
	v_dual_add_f32 v15, v104, v106 :: v_dual_add_f32 v22, v97, v3
	s_delay_alu instid0(VALU_DEP_4)
	v_dual_fmamk_f32 v20, v21, 0xbf5db3d7, v65 :: v_dual_mul_f32 v111, v70, v68
	v_fmac_f32_e32 v65, 0x3f5db3d7, v21
	v_fmac_f32_e32 v109, v16, v10
	;; [unrolled: 1-line block ×3, first 2 shown]
	v_fma_f32 v24, v24, v1, -v25
	v_fmac_f32_e32 v111, v69, v67
	v_mul_f32_e32 v105, v31, v13
	v_add_f32_e32 v25, v107, v109
	v_dual_mul_f32 v17, v17, v10 :: v_dual_mul_f32 v70, v70, v67
	v_dual_add_f32 v14, v102, v104 :: v_dual_add_f32 v3, v3, v6
	v_dual_fmac_f32 v102, -0.5, v15 :: v_dual_add_f32 v15, v22, v6
	s_delay_alu instid0(VALU_DEP_4)
	v_dual_add_f32 v6, v25, v111 :: v_dual_mul_f32 v103, v27, v5
	v_mul_f32_e32 v27, v27, v4
	v_mul_f32_e32 v31, v31, v12
	v_fmac_f32_e32 v105, v30, v12
	v_fma_f32 v7, v69, v68, -v70
	v_fmac_f32_e32 v103, v26, v4
	v_fma_f32 v0, v26, v5, -v27
	v_fma_f32 v5, v16, v11, -v17
	;; [unrolled: 1-line block ×4, first 2 shown]
	v_dual_add_f32 v9, v94, v103 :: v_dual_add_f32 v10, v103, v105
	s_delay_alu instid0(VALU_DEP_4)
	v_dual_sub_f32 v27, v5, v7 :: v_dual_add_f32 v28, v8, v5
	v_add_f32_e32 v5, v5, v7
	v_fma_f32 v2, v71, v66, -v72
	v_sub_f32_e32 v11, v0, v4
	v_add_f32_e32 v12, v95, v0
	v_add_f32_e32 v0, v0, v4
	v_dual_add_f32 v17, v24, v1 :: v_dual_add_f32 v26, v109, v111
	v_sub_f32_e32 v29, v109, v111
	v_add_f32_e32 v9, v9, v105
	v_fma_f32 v30, -0.5, v10, v94
	v_add_f32_e32 v10, v14, v106
	v_fmac_f32_e32 v8, -0.5, v5
	v_sub_f32_e32 v16, v1, v2
	v_dual_add_f32 v1, v1, v2 :: v_dual_add_f32 v4, v12, v4
	v_fma_f32 v31, -0.5, v0, v95
	v_add_f32_e32 v12, v17, v2
	v_fmac_f32_e32 v107, -0.5, v26
	v_add_f32_e32 v0, v9, v10
	v_sub_f32_e32 v2, v9, v10
	v_fmamk_f32 v10, v29, 0x3f5db3d7, v8
	s_delay_alu instid0(VALU_DEP_4) | instskip(SKIP_1) | instid1(VALU_DEP_3)
	v_dual_sub_f32 v18, v104, v106 :: v_dual_fmamk_f32 v9, v27, 0xbf5db3d7, v107
	v_dual_add_f32 v19, v96, v108 :: v_dual_fmac_f32 v24, -0.5, v1
	v_dual_mul_f32 v22, 0xbf5db3d7, v10 :: v_dual_fmamk_f32 v17, v11, 0xbf5db3d7, v30
	v_fmac_f32_e32 v30, 0x3f5db3d7, v11
	v_fmamk_f32 v11, v16, 0xbf5db3d7, v102
	v_fmac_f32_e32 v102, 0x3f5db3d7, v16
	s_delay_alu instid0(VALU_DEP_4) | instskip(SKIP_2) | instid1(VALU_DEP_3)
	v_fmac_f32_e32 v22, 0.5, v9
	v_dual_add_f32 v14, v19, v110 :: v_dual_add_f32 v7, v28, v7
	v_sub_f32_e32 v23, v108, v110
	v_dual_fmac_f32 v97, -0.5, v3 :: v_dual_add_f32 v16, v20, v22
	v_dual_sub_f32 v20, v20, v22 :: v_dual_sub_f32 v13, v103, v105
	v_dual_fmac_f32 v8, 0xbf5db3d7, v29 :: v_dual_add_f32 v1, v4, v12
	v_dual_sub_f32 v3, v4, v12 :: v_dual_add_f32 v4, v14, v6
	s_delay_alu instid0(VALU_DEP_3) | instskip(SKIP_4) | instid1(VALU_DEP_3)
	v_fmamk_f32 v19, v13, 0x3f5db3d7, v31
	v_fmac_f32_e32 v31, 0xbf5db3d7, v13
	v_fmamk_f32 v13, v18, 0x3f5db3d7, v24
	v_dual_fmac_f32 v24, 0xbf5db3d7, v18 :: v_dual_add_f32 v5, v15, v7
	v_dual_sub_f32 v6, v14, v6 :: v_dual_sub_f32 v7, v15, v7
	v_mul_f32_e32 v12, 0xbf5db3d7, v13
	s_delay_alu instid0(VALU_DEP_3)
	v_dual_mul_f32 v13, 0.5, v13 :: v_dual_mul_f32 v14, 0xbf5db3d7, v24
	v_dual_mul_f32 v15, -0.5, v24 :: v_dual_mul_f32 v24, 0.5, v10
	v_fmamk_f32 v21, v23, 0x3f5db3d7, v97
	v_fmac_f32_e32 v97, 0xbf5db3d7, v23
	v_fmac_f32_e32 v107, 0x3f5db3d7, v27
	v_mul_f32_e32 v23, 0xbf5db3d7, v8
	v_dual_mul_f32 v25, -0.5, v8 :: v_dual_fmac_f32 v12, 0.5, v11
	v_dual_fmac_f32 v13, 0x3f5db3d7, v11 :: v_dual_fmac_f32 v14, -0.5, v102
	v_dual_fmac_f32 v15, 0x3f5db3d7, v102 :: v_dual_fmac_f32 v24, 0x3f5db3d7, v9
	s_delay_alu instid0(VALU_DEP_4) | instskip(NEXT) | instid1(VALU_DEP_4)
	v_fmac_f32_e32 v23, -0.5, v107
	v_dual_fmac_f32 v25, 0x3f5db3d7, v107 :: v_dual_add_f32 v8, v17, v12
	s_delay_alu instid0(VALU_DEP_4) | instskip(NEXT) | instid1(VALU_DEP_4)
	v_dual_add_f32 v9, v19, v13 :: v_dual_add_f32 v10, v30, v14
	v_dual_add_f32 v11, v31, v15 :: v_dual_sub_f32 v12, v17, v12
	v_dual_sub_f32 v14, v30, v14 :: v_dual_sub_f32 v13, v19, v13
	v_sub_f32_e32 v15, v31, v15
	v_add_f32_e32 v17, v21, v24
	v_add_f32_e32 v18, v65, v23
	;; [unrolled: 1-line block ×3, first 2 shown]
	v_sub_f32_e32 v21, v21, v24
	v_sub_f32_e32 v22, v65, v23
	;; [unrolled: 1-line block ×3, first 2 shown]
	ds_store_2addr_b64 v99, v[0:1], v[8:9] offset1:36
	ds_store_2addr_b64 v99, v[10:11], v[2:3] offset0:72 offset1:108
	ds_store_2addr_b64 v99, v[12:13], v[14:15] offset0:144 offset1:180
	ds_store_2addr_b64 v98, v[4:5], v[16:17] offset1:36
	ds_store_2addr_b64 v98, v[18:19], v[6:7] offset0:72 offset1:108
	ds_store_2addr_b64 v98, v[20:21], v[22:23] offset0:144 offset1:180
	global_wb scope:SCOPE_SE
	s_wait_dscnt 0x0
	s_barrier_signal -1
	s_barrier_wait -1
	global_inv scope:SCOPE_SE
	ds_load_2addr_b64 v[2:5], v93 offset0:16 offset1:232
	ds_load_2addr_b64 v[6:9], v92 offset0:32 offset1:248
	;; [unrolled: 1-line block ×3, first 2 shown]
	ds_load_2addr_b64 v[14:17], v90 offset1:216
	ds_load_2addr_b64 v[18:21], v89 offset0:16 offset1:232
	ds_load_2addr_b64 v[22:25], v88 offset1:216
	global_wb scope:SCOPE_SE
	s_wait_dscnt 0x0
	s_barrier_signal -1
	s_barrier_wait -1
	global_inv scope:SCOPE_SE
	v_mad_co_u64_u32 v[0:1], null, s6, v64, 0
	v_mul_f32_e32 v26, v37, v3
	v_dual_mul_f32 v27, v37, v2 :: v_dual_mul_f32 v28, v39, v7
	v_mul_f32_e32 v29, v39, v6
	v_mul_f32_e32 v31, v33, v10
	;; [unrolled: 1-line block ×10, first 2 shown]
	v_dual_mul_f32 v33, v33, v12 :: v_dual_fmac_f32 v26, v36, v2
	v_fma_f32 v27, v36, v3, -v27
	v_fmac_f32_e32 v28, v38, v6
	v_fma_f32 v2, v38, v7, -v29
	v_fma_f32 v3, v32, v11, -v31
	;; [unrolled: 1-line block ×4, first 2 shown]
	v_mul_f32_e32 v70, v39, v9
	v_mul_f32_e32 v72, v35, v17
	v_dual_mul_f32 v35, v35, v16 :: v_dual_mul_f32 v94, v74, v21
	v_fmac_f32_e32 v30, v32, v10
	v_fmac_f32_e32 v65, v34, v14
	;; [unrolled: 1-line block ×3, first 2 shown]
	v_fma_f32 v10, v36, v5, -v37
	v_fma_f32 v5, v32, v13, -v33
	v_sub_f32_e32 v13, v2, v6
	v_add_f32_e32 v14, v23, v2
	v_add_f32_e32 v2, v2, v6
	v_sub_f32_e32 v18, v3, v7
	v_add_f32_e32 v19, v27, v3
	v_add_f32_e32 v3, v3, v7
	v_mul_f32_e32 v39, v39, v8
	v_mul_f32_e32 v74, v74, v20
	v_fmac_f32_e32 v70, v38, v8
	v_fmac_f32_e32 v71, v32, v12
	v_fma_f32 v8, v34, v17, -v35
	v_fmac_f32_e32 v94, v73, v20
	v_add_f32_e32 v12, v28, v65
	v_sub_f32_e32 v15, v28, v65
	v_add_f32_e32 v17, v30, v67
	v_sub_f32_e32 v20, v30, v67
	v_fma_f32 v23, -0.5, v2, v23
	v_dual_fmac_f32 v27, -0.5, v3 :: v_dual_fmac_f32 v72, v34, v16
	v_add_f32_e32 v11, v22, v28
	v_add_f32_e32 v16, v26, v30
	v_fma_f32 v22, -0.5, v12, v22
	v_dual_fmac_f32 v26, -0.5, v17 :: v_dual_add_f32 v7, v19, v7
	v_fmamk_f32 v19, v15, 0x3f5db3d7, v23
	v_fmac_f32_e32 v23, 0xbf5db3d7, v15
	v_fmamk_f32 v15, v20, 0x3f5db3d7, v27
	v_fmac_f32_e32 v27, 0xbf5db3d7, v20
	;; [unrolled: 2-line block ×4, first 2 shown]
	v_dual_mul_f32 v18, -0.5, v27 :: v_dual_add_f32 v35, v10, v5
	v_dual_add_f32 v28, v70, v72 :: v_dual_add_f32 v33, v71, v94
	s_delay_alu instid0(VALU_DEP_2)
	v_dual_add_f32 v11, v11, v65 :: v_dual_fmac_f32 v18, 0x3f5db3d7, v26
	v_fmac_f32_e32 v69, v36, v4
	v_fma_f32 v4, v38, v9, -v39
	v_fma_f32 v9, v73, v21, -v74
	v_add_f32_e32 v21, v24, v70
	v_sub_f32_e32 v36, v71, v94
	v_add_f32_e32 v32, v69, v71
	v_add_f32_e32 v30, v25, v4
	v_sub_f32_e32 v34, v5, v9
	v_add_f32_e32 v5, v5, v9
	v_sub_f32_e32 v29, v4, v8
	v_add_f32_e32 v4, v4, v8
	v_add_f32_e32 v12, v16, v67
	;; [unrolled: 1-line block ×3, first 2 shown]
	v_fmac_f32_e32 v10, -0.5, v5
	v_add_f32_e32 v14, v21, v72
	v_add_f32_e32 v16, v30, v8
	v_dual_add_f32 v8, v32, v94 :: v_dual_add_f32 v9, v35, v9
	v_sub_f32_e32 v31, v70, v72
	v_fma_f32 v24, -0.5, v28, v24
	v_fmac_f32_e32 v25, -0.5, v4
	v_dual_fmac_f32 v69, -0.5, v33 :: v_dual_add_f32 v2, v11, v12
	v_sub_f32_e32 v4, v11, v12
	v_fmamk_f32 v12, v36, 0x3f5db3d7, v10
	v_dual_fmac_f32 v10, 0xbf5db3d7, v36 :: v_dual_add_f32 v3, v6, v7
	v_sub_f32_e32 v5, v6, v7
	v_add_f32_e32 v6, v14, v8
	v_sub_f32_e32 v8, v14, v8
	v_mul_f32_e32 v14, 0xbf5db3d7, v15
	v_mul_f32_e32 v15, 0.5, v15
	v_add_f32_e32 v7, v16, v9
	v_dual_sub_f32 v9, v16, v9 :: v_dual_mul_f32 v16, 0xbf5db3d7, v27
	v_fmamk_f32 v28, v29, 0xbf5db3d7, v24
	v_dual_fmac_f32 v24, 0x3f5db3d7, v29 :: v_dual_fmamk_f32 v29, v31, 0x3f5db3d7, v25
	v_fmac_f32_e32 v25, 0xbf5db3d7, v31
	v_fmamk_f32 v11, v34, 0xbf5db3d7, v69
	v_mul_f32_e32 v27, 0xbf5db3d7, v12
	v_mul_f32_e32 v31, 0.5, v12
	v_fmac_f32_e32 v69, 0x3f5db3d7, v34
	v_mul_f32_e32 v30, 0xbf5db3d7, v10
	v_mul_f32_e32 v32, -0.5, v10
	v_fmac_f32_e32 v14, 0.5, v13
	v_dual_fmac_f32 v15, 0x3f5db3d7, v13 :: v_dual_fmac_f32 v16, -0.5, v26
	v_fmac_f32_e32 v27, 0.5, v11
	v_dual_fmac_f32 v31, 0x3f5db3d7, v11 :: v_dual_fmac_f32 v30, -0.5, v69
	v_fmac_f32_e32 v32, 0x3f5db3d7, v69
	s_delay_alu instid0(VALU_DEP_4)
	v_dual_add_f32 v10, v17, v14 :: v_dual_add_f32 v11, v19, v15
	v_dual_add_f32 v12, v22, v16 :: v_dual_add_f32 v13, v23, v18
	v_sub_f32_e32 v14, v17, v14
	v_dual_sub_f32 v16, v22, v16 :: v_dual_sub_f32 v15, v19, v15
	v_dual_sub_f32 v17, v23, v18 :: v_dual_add_f32 v18, v28, v27
	v_dual_add_f32 v19, v29, v31 :: v_dual_add_f32 v20, v24, v30
	v_dual_add_f32 v21, v25, v32 :: v_dual_sub_f32 v22, v28, v27
	v_dual_sub_f32 v24, v24, v30 :: v_dual_sub_f32 v23, v29, v31
	v_sub_f32_e32 v25, v25, v32
	ds_store_2addr_b64 v88, v[2:3], v[10:11] offset1:216
	ds_store_2addr_b64 v93, v[12:13], v[4:5] offset0:16 offset1:232
	ds_store_2addr_b64 v92, v[14:15], v[16:17] offset0:32 offset1:248
	;; [unrolled: 1-line block ×3, first 2 shown]
	ds_store_2addr_b64 v90, v[20:21], v[8:9] offset1:216
	ds_store_2addr_b64 v89, v[22:23], v[24:25] offset0:16 offset1:232
	global_wb scope:SCOPE_SE
	s_wait_dscnt 0x0
	s_barrier_signal -1
	s_barrier_wait -1
	global_inv scope:SCOPE_SE
	ds_load_2addr_b64 v[2:5], v91 offset0:16 offset1:232
	v_mad_co_u64_u32 v[26:27], null, s4, v87, 0
	ds_load_2addr_b64 v[6:9], v90 offset1:216
	ds_load_2addr_b64 v[10:13], v89 offset0:16 offset1:232
	s_wait_dscnt 0x2
	v_mad_co_u64_u32 v[14:15], null, s7, v64, v[1:2]
	v_mov_b32_e32 v1, v27
	v_dual_mul_f32 v29, v76, v2 :: v_dual_mul_f32 v30, v78, v5
	s_wait_dscnt 0x1
	v_dual_mul_f32 v31, v78, v4 :: v_dual_mul_f32 v32, v80, v7
	s_delay_alu instid0(VALU_DEP_3)
	v_mad_co_u64_u32 v[27:28], null, s5, v87, v[1:2]
	v_mov_b32_e32 v1, v14
	ds_load_2addr_b64 v[14:17], v88 offset1:216
	ds_load_2addr_b64 v[18:21], v93 offset0:16 offset1:232
	ds_load_2addr_b64 v[22:25], v92 offset0:32 offset1:248
	v_mul_f32_e32 v28, v76, v3
	v_dual_mul_f32 v33, v80, v6 :: v_dual_mul_f32 v34, v82, v9
	v_mul_f32_e32 v35, v82, v8
	s_wait_dscnt 0x3
	v_mul_f32_e32 v36, v86, v11
	v_dual_mul_f32 v37, v86, v10 :: v_dual_mul_f32 v38, v84, v13
	v_dual_mul_f32 v39, v84, v12 :: v_dual_fmac_f32 v28, v75, v2
	v_fma_f32 v3, v75, v3, -v29
	v_fmac_f32_e32 v30, v77, v4
	v_fma_f32 v5, v77, v5, -v31
	v_fmac_f32_e32 v32, v79, v6
	;; [unrolled: 2-line block ×5, first 2 shown]
	v_fma_f32 v13, v83, v13, -v39
	s_wait_dscnt 0x2
	v_dual_sub_f32 v2, v14, v28 :: v_dual_sub_f32 v3, v15, v3
	v_dual_sub_f32 v4, v16, v30 :: v_dual_sub_f32 v5, v17, v5
	s_wait_dscnt 0x1
	v_dual_sub_f32 v6, v18, v32 :: v_dual_sub_f32 v7, v19, v7
	v_dual_sub_f32 v8, v20, v34 :: v_dual_sub_f32 v9, v21, v9
	s_wait_dscnt 0x0
	v_dual_sub_f32 v10, v22, v36 :: v_dual_sub_f32 v11, v23, v11
	v_dual_sub_f32 v12, v24, v38 :: v_dual_sub_f32 v13, v25, v13
	v_fma_f32 v14, v14, 2.0, -v2
	v_fma_f32 v15, v15, 2.0, -v3
	;; [unrolled: 1-line block ×12, first 2 shown]
	ds_store_b64 v88, v[2:3] offset:10368
	ds_store_2addr_b64 v88, v[14:15], v[16:17] offset1:216
	ds_store_2addr_b64 v100, v[4:5], v[6:7] offset0:8 offset1:224
	ds_store_2addr_b64 v93, v[18:19], v[20:21] offset0:16 offset1:232
	;; [unrolled: 1-line block ×4, first 2 shown]
	ds_store_b64 v88, v[12:13] offset:19008
	global_wb scope:SCOPE_SE
	s_wait_dscnt 0x0
	s_barrier_signal -1
	s_barrier_wait -1
	global_inv scope:SCOPE_SE
	ds_load_2addr_b64 v[2:5], v88 offset1:216
	ds_load_2addr_b64 v[6:9], v93 offset0:16 offset1:232
	ds_load_2addr_b64 v[10:13], v92 offset0:32 offset1:248
	;; [unrolled: 1-line block ×3, first 2 shown]
	ds_load_2addr_b64 v[18:21], v90 offset1:216
	ds_load_2addr_b64 v[22:25], v89 offset0:16 offset1:232
	v_lshlrev_b64_e32 v[0:1], 3, v[0:1]
	v_lshlrev_b64_e32 v[26:27], 3, v[26:27]
	s_delay_alu instid0(VALU_DEP_2) | instskip(SKIP_1) | instid1(VALU_DEP_3)
	v_add_co_u32 v0, vcc_lo, s0, v0
	s_wait_alu 0xfffd
	v_add_co_ci_u32_e32 v1, vcc_lo, s1, v1, vcc_lo
	s_mul_u64 s[0:1], s[4:5], 0xd80
	s_delay_alu instid0(VALU_DEP_2) | instskip(SKIP_1) | instid1(VALU_DEP_2)
	v_add_co_u32 v0, vcc_lo, v0, v26
	s_wait_alu 0xfffd
	v_add_co_ci_u32_e32 v1, vcc_lo, v1, v27, vcc_lo
	s_wait_dscnt 0x5
	v_mul_f32_e32 v26, v41, v3
	s_wait_dscnt 0x4
	v_dual_mul_f32 v27, v41, v2 :: v_dual_mul_f32 v28, v43, v7
	v_mul_f32_e32 v29, v43, v6
	s_wait_dscnt 0x3
	v_mul_f32_e32 v30, v47, v11
	s_wait_dscnt 0x2
	v_dual_mul_f32 v31, v47, v10 :: v_dual_mul_f32 v32, v45, v15
	v_mul_f32_e32 v33, v45, v14
	s_wait_dscnt 0x1
	v_mul_f32_e32 v34, v49, v19
	s_wait_dscnt 0x0
	v_dual_mul_f32 v35, v49, v18 :: v_dual_mul_f32 v36, v51, v23
	v_dual_mul_f32 v37, v51, v22 :: v_dual_mul_f32 v38, v57, v5
	v_dual_mul_f32 v39, v57, v4 :: v_dual_fmac_f32 v26, v40, v2
	v_fma_f32 v27, v40, v3, -v27
	s_delay_alu instid0(VALU_DEP_3)
	v_dual_mul_f32 v41, v55, v9 :: v_dual_fmac_f32 v38, v56, v4
	v_dual_mul_f32 v43, v55, v8 :: v_dual_fmac_f32 v28, v42, v6
	v_fma_f32 v29, v42, v7, -v29
	v_mul_f32_e32 v45, v59, v13
	v_dual_mul_f32 v47, v59, v12 :: v_dual_fmac_f32 v30, v46, v10
	v_fma_f32 v31, v46, v11, -v31
	v_mul_f32_e32 v49, v53, v17
	;; [unrolled: 3-line block ×4, first 2 shown]
	v_dual_mul_f32 v59, v61, v24 :: v_dual_fmac_f32 v36, v50, v22
	v_fma_f32 v37, v50, v23, -v37
	v_fma_f32 v39, v56, v5, -v39
	v_cvt_f64_f32_e32 v[2:3], v26
	v_cvt_f64_f32_e32 v[4:5], v27
	v_fmac_f32_e32 v41, v54, v8
	v_fma_f32 v40, v54, v9, -v43
	v_cvt_f64_f32_e32 v[6:7], v28
	v_cvt_f64_f32_e32 v[8:9], v29
	v_fmac_f32_e32 v45, v58, v12
	;; [unrolled: 4-line block ×5, first 2 shown]
	v_fma_f32 v48, v60, v25, -v59
	v_cvt_f64_f32_e32 v[22:23], v36
	v_cvt_f64_f32_e32 v[24:25], v37
	;; [unrolled: 1-line block ×14, first 2 shown]
	s_wait_alu 0xfffe
	v_add_co_u32 v50, vcc_lo, v0, s0
	s_wait_alu 0xfffd
	v_add_co_ci_u32_e32 v51, vcc_lo, s1, v1, vcc_lo
	v_mul_f64_e32 v[2:3], s[2:3], v[2:3]
	v_mul_f64_e32 v[4:5], s[2:3], v[4:5]
	v_add_co_u32 v52, vcc_lo, v50, s0
	v_mul_f64_e32 v[6:7], s[2:3], v[6:7]
	v_mul_f64_e32 v[8:9], s[2:3], v[8:9]
	s_wait_alu 0xfffd
	v_add_co_ci_u32_e32 v53, vcc_lo, s1, v51, vcc_lo
	v_mul_f64_e32 v[10:11], s[2:3], v[10:11]
	v_mul_f64_e32 v[12:13], s[2:3], v[12:13]
	v_add_co_u32 v54, vcc_lo, v52, s0
	v_mul_f64_e32 v[14:15], s[2:3], v[14:15]
	v_mul_f64_e32 v[16:17], s[2:3], v[16:17]
	;; [unrolled: 7-line block ×3, first 2 shown]
	v_mul_f64_e32 v[26:27], s[2:3], v[26:27]
	v_mul_f64_e32 v[28:29], s[2:3], v[28:29]
	;; [unrolled: 1-line block ×12, first 2 shown]
	s_wait_alu 0xfffd
	v_add_co_ci_u32_e32 v57, vcc_lo, s1, v55, vcc_lo
	v_add_co_u32 v58, vcc_lo, v56, s0
	v_cvt_f32_f64_e32 v2, v[2:3]
	s_wait_alu 0xfffd
	s_delay_alu instid0(VALU_DEP_3) | instskip(SKIP_3) | instid1(VALU_DEP_4)
	v_add_co_ci_u32_e32 v59, vcc_lo, s1, v57, vcc_lo
	v_cvt_f32_f64_e32 v3, v[4:5]
	v_cvt_f32_f64_e32 v4, v[6:7]
	;; [unrolled: 1-line block ×3, first 2 shown]
	v_mad_co_u64_u32 v[60:61], null, 0xffffc340, s4, v[58:59]
	v_cvt_f32_f64_e32 v6, v[10:11]
	v_cvt_f32_f64_e32 v7, v[12:13]
	s_mul_i32 s2, s5, 0xffffc340
	v_cvt_f32_f64_e32 v8, v[14:15]
	v_cvt_f32_f64_e32 v9, v[16:17]
	s_wait_alu 0xfffe
	s_sub_co_i32 s2, s2, s4
	v_cvt_f32_f64_e32 v10, v[18:19]
	v_cvt_f32_f64_e32 v11, v[20:21]
	s_wait_alu 0xfffe
	v_add_nc_u32_e32 v61, s2, v61
	v_cvt_f32_f64_e32 v12, v[22:23]
	v_cvt_f32_f64_e32 v13, v[24:25]
	;; [unrolled: 1-line block ×14, first 2 shown]
	v_add_co_u32 v26, vcc_lo, v60, s0
	s_wait_alu 0xfffd
	v_add_co_ci_u32_e32 v27, vcc_lo, s1, v61, vcc_lo
	s_delay_alu instid0(VALU_DEP_2) | instskip(SKIP_1) | instid1(VALU_DEP_2)
	v_add_co_u32 v28, vcc_lo, v26, s0
	s_wait_alu 0xfffd
	v_add_co_ci_u32_e32 v29, vcc_lo, s1, v27, vcc_lo
	s_delay_alu instid0(VALU_DEP_2) | instskip(SKIP_1) | instid1(VALU_DEP_2)
	;; [unrolled: 4-line block ×4, first 2 shown]
	v_add_co_u32 v34, vcc_lo, v32, s0
	s_wait_alu 0xfffd
	v_add_co_ci_u32_e32 v35, vcc_lo, s1, v33, vcc_lo
	s_clause 0x4
	global_store_b64 v[0:1], v[2:3], off
	global_store_b64 v[50:51], v[4:5], off
	;; [unrolled: 1-line block ×12, first 2 shown]
.LBB0_2:
	s_nop 0
	s_sendmsg sendmsg(MSG_DEALLOC_VGPRS)
	s_endpgm
	.section	.rodata,"a",@progbits
	.p2align	6, 0x0
	.amdhsa_kernel bluestein_single_fwd_len2592_dim1_sp_op_CI_CI
		.amdhsa_group_segment_fixed_size 20736
		.amdhsa_private_segment_fixed_size 0
		.amdhsa_kernarg_size 104
		.amdhsa_user_sgpr_count 2
		.amdhsa_user_sgpr_dispatch_ptr 0
		.amdhsa_user_sgpr_queue_ptr 0
		.amdhsa_user_sgpr_kernarg_segment_ptr 1
		.amdhsa_user_sgpr_dispatch_id 0
		.amdhsa_user_sgpr_private_segment_size 0
		.amdhsa_wavefront_size32 1
		.amdhsa_uses_dynamic_stack 0
		.amdhsa_enable_private_segment 0
		.amdhsa_system_sgpr_workgroup_id_x 1
		.amdhsa_system_sgpr_workgroup_id_y 0
		.amdhsa_system_sgpr_workgroup_id_z 0
		.amdhsa_system_sgpr_workgroup_info 0
		.amdhsa_system_vgpr_workitem_id 0
		.amdhsa_next_free_vgpr 139
		.amdhsa_next_free_sgpr 20
		.amdhsa_reserve_vcc 1
		.amdhsa_float_round_mode_32 0
		.amdhsa_float_round_mode_16_64 0
		.amdhsa_float_denorm_mode_32 3
		.amdhsa_float_denorm_mode_16_64 3
		.amdhsa_fp16_overflow 0
		.amdhsa_workgroup_processor_mode 1
		.amdhsa_memory_ordered 1
		.amdhsa_forward_progress 0
		.amdhsa_round_robin_scheduling 0
		.amdhsa_exception_fp_ieee_invalid_op 0
		.amdhsa_exception_fp_denorm_src 0
		.amdhsa_exception_fp_ieee_div_zero 0
		.amdhsa_exception_fp_ieee_overflow 0
		.amdhsa_exception_fp_ieee_underflow 0
		.amdhsa_exception_fp_ieee_inexact 0
		.amdhsa_exception_int_div_zero 0
	.end_amdhsa_kernel
	.text
.Lfunc_end0:
	.size	bluestein_single_fwd_len2592_dim1_sp_op_CI_CI, .Lfunc_end0-bluestein_single_fwd_len2592_dim1_sp_op_CI_CI
                                        ; -- End function
	.section	.AMDGPU.csdata,"",@progbits
; Kernel info:
; codeLenInByte = 11248
; NumSgprs: 22
; NumVgprs: 139
; ScratchSize: 0
; MemoryBound: 0
; FloatMode: 240
; IeeeMode: 1
; LDSByteSize: 20736 bytes/workgroup (compile time only)
; SGPRBlocks: 2
; VGPRBlocks: 17
; NumSGPRsForWavesPerEU: 22
; NumVGPRsForWavesPerEU: 139
; Occupancy: 10
; WaveLimiterHint : 1
; COMPUTE_PGM_RSRC2:SCRATCH_EN: 0
; COMPUTE_PGM_RSRC2:USER_SGPR: 2
; COMPUTE_PGM_RSRC2:TRAP_HANDLER: 0
; COMPUTE_PGM_RSRC2:TGID_X_EN: 1
; COMPUTE_PGM_RSRC2:TGID_Y_EN: 0
; COMPUTE_PGM_RSRC2:TGID_Z_EN: 0
; COMPUTE_PGM_RSRC2:TIDIG_COMP_CNT: 0
	.text
	.p2alignl 7, 3214868480
	.fill 96, 4, 3214868480
	.type	__hip_cuid_3702b71362b5b2a7,@object ; @__hip_cuid_3702b71362b5b2a7
	.section	.bss,"aw",@nobits
	.globl	__hip_cuid_3702b71362b5b2a7
__hip_cuid_3702b71362b5b2a7:
	.byte	0                               ; 0x0
	.size	__hip_cuid_3702b71362b5b2a7, 1

	.ident	"AMD clang version 19.0.0git (https://github.com/RadeonOpenCompute/llvm-project roc-6.4.0 25133 c7fe45cf4b819c5991fe208aaa96edf142730f1d)"
	.section	".note.GNU-stack","",@progbits
	.addrsig
	.addrsig_sym __hip_cuid_3702b71362b5b2a7
	.amdgpu_metadata
---
amdhsa.kernels:
  - .args:
      - .actual_access:  read_only
        .address_space:  global
        .offset:         0
        .size:           8
        .value_kind:     global_buffer
      - .actual_access:  read_only
        .address_space:  global
        .offset:         8
        .size:           8
        .value_kind:     global_buffer
      - .actual_access:  read_only
        .address_space:  global
        .offset:         16
        .size:           8
        .value_kind:     global_buffer
      - .actual_access:  read_only
        .address_space:  global
        .offset:         24
        .size:           8
        .value_kind:     global_buffer
      - .actual_access:  read_only
        .address_space:  global
        .offset:         32
        .size:           8
        .value_kind:     global_buffer
      - .offset:         40
        .size:           8
        .value_kind:     by_value
      - .address_space:  global
        .offset:         48
        .size:           8
        .value_kind:     global_buffer
      - .address_space:  global
        .offset:         56
        .size:           8
        .value_kind:     global_buffer
      - .address_space:  global
        .offset:         64
        .size:           8
        .value_kind:     global_buffer
      - .address_space:  global
        .offset:         72
        .size:           8
        .value_kind:     global_buffer
      - .offset:         80
        .size:           4
        .value_kind:     by_value
      - .address_space:  global
        .offset:         88
        .size:           8
        .value_kind:     global_buffer
      - .address_space:  global
        .offset:         96
        .size:           8
        .value_kind:     global_buffer
    .group_segment_fixed_size: 20736
    .kernarg_segment_align: 8
    .kernarg_segment_size: 104
    .language:       OpenCL C
    .language_version:
      - 2
      - 0
    .max_flat_workgroup_size: 216
    .name:           bluestein_single_fwd_len2592_dim1_sp_op_CI_CI
    .private_segment_fixed_size: 0
    .sgpr_count:     22
    .sgpr_spill_count: 0
    .symbol:         bluestein_single_fwd_len2592_dim1_sp_op_CI_CI.kd
    .uniform_work_group_size: 1
    .uses_dynamic_stack: false
    .vgpr_count:     139
    .vgpr_spill_count: 0
    .wavefront_size: 32
    .workgroup_processor_mode: 1
amdhsa.target:   amdgcn-amd-amdhsa--gfx1201
amdhsa.version:
  - 1
  - 2
...

	.end_amdgpu_metadata
